;; amdgpu-corpus repo=ROCm/aiter kind=harvested arch=n/a opt=n/a

/root/src/amdgpu-assembly/repos/ROCm__aiter/hsa/gfx942/fmha_v3_bwd/bwd_hd128_fp16_causal_a16_pddv.co:	file format elf64-amdgpu

Disassembly of section .text:

0000000000003e00 <_ZN5aiter35fmha_bwd_hd128_fp16_causal_a16_pddvE>:
	s_and_b32 s1, s1, 0xffff                                   // 000000003E00: 8601FF01 0000FFFF
	s_load_dwordx2 s[32:33], s[0:1], 0x0                       // 000000003E08: C0060800 00000000
	s_load_dwordx2 s[36:37], s[0:1], 0x10                      // 000000003E10: C0060900 00000010
	s_load_dwordx2 s[40:41], s[0:1], 0x20                      // 000000003E18: C0060A00 00000020
	s_load_dwordx2 s[8:9], s[0:1], 0x30                        // 000000003E20: C0060200 00000030
	s_load_dwordx2 s[12:13], s[0:1], 0x40                      // 000000003E28: C0060300 00000040
	s_load_dwordx2 s[16:17], s[0:1], 0x50                      // 000000003E30: C0060400 00000050
	s_load_dwordx2 s[20:21], s[0:1], 0x60                      // 000000003E38: C0060500 00000060
	s_load_dwordx2 s[24:25], s[0:1], 0x70                      // 000000003E40: C0060600 00000070
	s_load_dwordx2 s[28:29], s[0:1], 0x80                      // 000000003E48: C0060700 00000080
	s_load_dword s48, s[0:1], 0x90                             // 000000003E50: C0020C00 00000090
	s_load_dword s49, s[0:1], 0xa0                             // 000000003E58: C0020C40 000000A0
	s_load_dword s50, s[0:1], 0xb0                             // 000000003E60: C0020C80 000000B0
	s_load_dword s51, s[0:1], 0xc0                             // 000000003E68: C0020CC0 000000C0
	s_load_dword s52, s[0:1], 0xd0                             // 000000003E70: C0020D00 000000D0
	s_load_dword s53, s[0:1], 0xe0                             // 000000003E78: C0020D40 000000E0
	s_load_dword s70, s[0:1], 0xf0                             // 000000003E80: C0021180 000000F0
	s_load_dword s44, s[0:1], 0x100                            // 000000003E88: C0020B00 00000100
	s_load_dword s5, s[0:1], 0x110                             // 000000003E90: C0020140 00000110
	s_load_dword s6, s[0:1], 0x120                             // 000000003E98: C0020180 00000120
	s_load_dword s7, s[0:1], 0x130                             // 000000003EA0: C00201C0 00000130
	s_load_dword s46, s[0:1], 0x140                            // 000000003EA8: C0020B80 00000140
	s_load_dword s98, s[0:1], 0x160                            // 000000003EB0: C0021880 00000160
	v_lshrrev_b32_e32 v1, 10, v0                               // 000000003EB8: 2002008A
	v_lshrrev_b32_e32 v2, 10, v1                               // 000000003EBC: 2004028A
	v_and_b32_e32 v2, 0x3ff, v2                                // 000000003EC0: 260404FF 000003FF
	v_and_b32_e32 v1, 0x3ff, v1                                // 000000003EC8: 260202FF 000003FF
	v_and_b32_e32 v0, 0x3ff, v0                                // 000000003ED0: 260000FF 000003FF
	v_lshrrev_b32_e32 v3, 6, v0                                // 000000003ED8: 20060086
	v_and_b32_e32 v0, 63, v0                                   // 000000003EDC: 260000BF
	s_mov_b32 s2, s2                                           // 000000003EE0: BE820002
	s_mov_b32 s3, s3                                           // 000000003EE4: BE830003
	s_mov_b32 s4, s4                                           // 000000003EE8: BE840004
	v_readfirstlane_b32 s47, v3                                // 000000003EEC: 7E5E0503
	s_waitcnt lgkmcnt(0)                                       // 000000003EF0: BF8CC07F
	s_mov_b32 s10, 0x80000000                                  // 000000003EF4: BE8A00FF 80000000
	s_mov_b32 s14, 0x80000000                                  // 000000003EFC: BE8E00FF 80000000
	s_mov_b32 s18, 0x80000000                                  // 000000003F04: BE9200FF 80000000
	s_mov_b32 s22, 0x80000000                                  // 000000003F0C: BE9600FF 80000000
	s_mov_b32 s26, 0x80000000                                  // 000000003F14: BE9A00FF 80000000
	s_mov_b32 s30, 0x80000000                                  // 000000003F1C: BE9E00FF 80000000
	s_mov_b32 s34, 0x80000000                                  // 000000003F24: BEA200FF 80000000
	s_mov_b32 s38, 0x80000000                                  // 000000003F2C: BEA600FF 80000000
	s_mov_b32 s42, 0x80000000                                  // 000000003F34: BEAA00FF 80000000
	s_mov_b32 s11, 0x20000                                     // 000000003F3C: BE8B00FF 00020000
	s_mov_b32 s15, 0x20000                                     // 000000003F44: BE8F00FF 00020000
	s_mov_b32 s19, 0x20000                                     // 000000003F4C: BE9300FF 00020000
	s_mov_b32 s23, 0x20000                                     // 000000003F54: BE9700FF 00020000
	s_mov_b32 s27, 0x20000                                     // 000000003F5C: BE9B00FF 00020000
	s_mov_b32 s31, 0x20000                                     // 000000003F64: BE9F00FF 00020000
	s_mov_b32 s35, 0x20000                                     // 000000003F6C: BEA300FF 00020000
	s_mov_b32 s39, 0x20000                                     // 000000003F74: BEA700FF 00020000
	s_mov_b32 s43, 0x20000                                     // 000000003F7C: BEAB00FF 00020000
	s_and_b32 s9, s9, 0xffff                                   // 000000003F84: 8609FF09 0000FFFF
	s_and_b32 s13, s13, 0xffff                                 // 000000003F8C: 860DFF0D 0000FFFF
	s_and_b32 s17, s17, 0xffff                                 // 000000003F94: 8611FF11 0000FFFF
	s_and_b32 s21, s21, 0xffff                                 // 000000003F9C: 8615FF15 0000FFFF
	s_and_b32 s25, s25, 0xffff                                 // 000000003FA4: 8619FF19 0000FFFF
	s_and_b32 s29, s29, 0xffff                                 // 000000003FAC: 861DFF1D 0000FFFF
	s_and_b32 s33, s33, 0xffff                                 // 000000003FB4: 8621FF21 0000FFFF
	s_and_b32 s37, s37, 0xffff                                 // 000000003FBC: 8625FF25 0000FFFF
	s_and_b32 s41, s41, 0xffff                                 // 000000003FC4: 8629FF29 0000FFFF
	s_or_b32 s9, s9, 0x40000                                   // 000000003FCC: 8709FF09 00040000
	s_or_b32 s13, s13, 0x40000                                 // 000000003FD4: 870DFF0D 00040000
	s_or_b32 s17, s17, 0x40000                                 // 000000003FDC: 8711FF11 00040000
	s_or_b32 s21, s21, 0x40000                                 // 000000003FE4: 8715FF15 00040000
	s_or_b32 s25, s25, 0x40000                                 // 000000003FEC: 8719FF19 00040000
	s_or_b32 s29, s29, 0x40000                                 // 000000003FF4: 871DFF1D 00040000
	s_or_b32 s33, s33, 0x40000                                 // 000000003FFC: 8721FF21 00040000
	s_or_b32 s37, s37, 0x40000                                 // 000000004004: 8725FF25 00040000
	s_or_b32 s41, s41, 0x40000                                 // 00000000400C: 8729FF29 00040000
	v_accvgpr_write_b32 a255, 0                                // 000000004014: D3D940FF 18000080
	v_mov_b32_e32 v247, 0                                      // 00000000401C: 7FEE0280
	s_mov_b32 s80, s8                                          // 000000004020: BED00008
	s_mov_b32 s82, s12                                         // 000000004024: BED2000C
	s_mov_b32 s84, s16                                         // 000000004028: BED40010
	s_mov_b32 s86, s20                                         // 00000000402C: BED60014
	s_mov_b32 s88, s32                                         // 000000004030: BED80020
	s_mov_b32 s81, s9                                          // 000000004034: BED10009
	s_mov_b32 s83, s13                                         // 000000004038: BED3000D
	s_mov_b32 s85, s17                                         // 00000000403C: BED50011
	s_mov_b32 s87, s21                                         // 000000004040: BED70015
	s_mov_b32 s89, s33                                         // 000000004044: BED90021
	s_mov_b32 s71, s3                                          // 000000004048: BEC70003
	v_cvt_f32_u32_e32 v28, s44                                 // 00000000404C: 7E380C2C
	s_sub_i32 s60, 0, s44                                      // 000000004050: 81BC2C80
	v_rcp_iflag_f32_e32 v28, v28                               // 000000004054: 7E38471C
	s_nop 0                                                    // 000000004058: BF800000
	v_mul_f32_e32 v28, 0x4f7ffffe, v28                         // 00000000405C: 0A3838FF 4F7FFFFE
	v_cvt_u32_f32_e32 v28, v28                                 // 000000004064: 7E380F1C
	v_mul_lo_u32 v29, s60, v28                                 // 000000004068: D285001D 0002383C
	v_mul_hi_u32 v29, v28, v29                                 // 000000004070: D286001D 00023B1C
	v_add_u32_e32 v28, v28, v29                                // 000000004078: 68383B1C
	v_mul_hi_u32 v28, s71, v28                                 // 00000000407C: D286001C 00023847
	v_mul_lo_u32 v29, v28, s44                                 // 000000004084: D285001D 0000591C
	v_sub_u32_e32 v31, s71, v29                                // 00000000408C: 6A3E3A47
	v_add_u32_e32 v30, 1, v28                                  // 000000004090: 683C3881
	v_cmp_le_u32_e32 vcc, s44, v31                             // 000000004094: 7D963E2C
	v_subrev_u32_e32 v29, s44, v31                             // 000000004098: 6C3A3E2C
	s_nop 0                                                    // 00000000409C: BF800000
	v_cndmask_b32_e32 v28, v28, v30, vcc                       // 0000000040A0: 00383D1C
	v_cndmask_b32_e32 v31, v31, v29, vcc                       // 0000000040A4: 003E3B1F
	v_add_u32_e32 v29, 1, v28                                  // 0000000040A8: 683A3881
	v_cmp_le_u32_e32 vcc, s44, v31                             // 0000000040AC: 7D963E2C
	s_nop 1                                                    // 0000000040B0: BF800001
	v_cndmask_b32_e32 v31, v28, v29, vcc                       // 0000000040B4: 003E3B1C
	s_nop 3                                                    // 0000000040B8: BF800003
	v_readfirstlane_b32 s45, v31                               // 0000000040BC: 7E5A051F
	s_nop 3                                                    // 0000000040C0: BF800003
	s_add_u32 s71, 0x80, s50                                   // 0000000040C4: 804732FF 00000080
	s_mov_b32 s74, 0xc0                                        // 0000000040CC: BECA00FF 000000C0
	v_cvt_f32_u32_e32 v28, s74                                 // 0000000040D4: 7E380C4A
	s_sub_i32 s60, 0, s74                                      // 0000000040D8: 81BC4A80
	v_rcp_iflag_f32_e32 v28, v28                               // 0000000040DC: 7E38471C
	s_nop 0                                                    // 0000000040E0: BF800000
	v_mul_f32_e32 v28, 0x4f7ffffe, v28                         // 0000000040E4: 0A3838FF 4F7FFFFE
	v_cvt_u32_f32_e32 v28, v28                                 // 0000000040EC: 7E380F1C
	v_mul_lo_u32 v29, s60, v28                                 // 0000000040F0: D285001D 0002383C
	v_mul_hi_u32 v29, v28, v29                                 // 0000000040F8: D286001D 00023B1C
	v_add_u32_e32 v28, v28, v29                                // 000000004100: 68383B1C
	v_mul_hi_u32 v28, s71, v28                                 // 000000004104: D286001C 00023847
	v_mul_lo_u32 v29, v28, s74                                 // 00000000410C: D285001D 0000951C
	v_sub_u32_e32 v31, s71, v29                                // 000000004114: 6A3E3A47
	v_add_u32_e32 v30, 1, v28                                  // 000000004118: 683C3881
	v_cmp_le_u32_e32 vcc, s74, v31                             // 00000000411C: 7D963E4A
	v_subrev_u32_e32 v29, s74, v31                             // 000000004120: 6C3A3E4A
	s_nop 0                                                    // 000000004124: BF800000
	v_cndmask_b32_e32 v28, v28, v30, vcc                       // 000000004128: 00383D1C
	v_cndmask_b32_e32 v31, v31, v29, vcc                       // 00000000412C: 003E3B1F
	v_add_u32_e32 v29, 1, v28                                  // 000000004130: 683A3881
	v_cmp_le_u32_e32 vcc, s74, v31                             // 000000004134: 7D963E4A
	s_nop 1                                                    // 000000004138: BF800001
	v_cndmask_b32_e32 v31, v28, v29, vcc                       // 00000000413C: 003E3B1C
	s_nop 3                                                    // 000000004140: BF800003
	v_readfirstlane_b32 s77, v31                               // 000000004144: 7E9A051F
	s_nop 3                                                    // 000000004148: BF800003
	v_mov_b32_e32 v28, s48                                     // 00000000414C: 7E380230
	v_mul_f32_e32 v28, s49, v28                                // 000000004150: 0A383831
	s_mov_b32 s66, 0                                           // 000000004154: BEC20080
	s_mov_b32 s58, s50                                         // 000000004158: BEBA0032
	s_mov_b32 s59, 0                                           // 00000000415C: BEBB0080
	s_mov_b32 s63, 0x5040100                                   // 000000004160: BEBF00FF 05040100
	s_mov_b32 s64, 0x7060302                                   // 000000004168: BEC000FF 07060302
	v_readfirstlane_b32 s57, v28                               // 000000004170: 7E72051C
	v_mov_b32_e32 v30, 0x3020706                               // 000000004174: 7E3C02FF 03020706
	v_mov_b32_e32 v28, s63                                     // 00000000417C: 7E38023F
	v_and_b32_e32 v29, 1, v0                                   // 000000004180: 263A0081
	v_cmp_eq_u32_e32 vcc, 1, v29                               // 000000004184: 7D943A81
	s_mul_i32 s67, 16, s70                                     // 000000004188: 92434690
	v_cndmask_b32_e32 v15, v28, v30, vcc                       // 00000000418C: 001E3D1C
	s_cmp_lt_u32 s47, 2                                        // 000000004190: BF0A822F
	s_cselect_b32 s24, s24, s28                                // 000000004194: 85181C18
	s_cselect_b32 s25, s25, s29                                // 000000004198: 85191D19
	s_cselect_b32 s26, s26, s30                                // 00000000419C: 851A1E1A
	s_cselect_b32 s27, s27, s31                                // 0000000041A0: 851B1F1B
	s_lshr_b32 s60, s47, 1                                     // 0000000041A4: 8F3C812F
	s_lshl_b32 s60, s60, 8                                     // 0000000041A8: 8E3C883C
	s_add_u32 s78, 0xc600, s60                                 // 0000000041AC: 804E3CFF 0000C600
	s_add_u32 s79, 0x200, s78                                  // 0000000041B4: 804F4EFF 00000200
	s_mov_b32 s75, 0                                           // 0000000041BC: BECB0080
	s_mov_b32 s76, 1                                           // 0000000041C0: BECC0081
	s_lshl_b32 s60, s2, 1                                      // 0000000041C4: 8E3C8102
	s_add_u32 s60, 1, s60                                      // 0000000041C8: 803C3C81
	s_mul_i32 s60, 0xc0, s60                                   // 0000000041CC: 923C3CFF 000000C0
	s_cmp_ge_i32 s60, s50                                      // 0000000041D4: BF03323C
	s_cselect_b32 s76, s76, 2                                  // 0000000041D8: 854C824C
	v_lshrrev_b32_e32 v28, 2, v0                               // 0000000041DC: 20380082
	v_and_b32_e32 v29, 3, v28                                  // 0000000041E0: 263A3883
	v_lshrrev_b32_e32 v30, 3, v28                              // 0000000041E4: 203C3883
	v_lshlrev_b32_e32 v30, 2, v30                              // 0000000041E8: 243C3C82
	v_add_u32_e32 v28, v30, v29                                // 0000000041EC: 68383B1E
	s_lshr_b32 s60, s47, 1                                     // 0000000041F0: 8F3C812F
	s_sub_i32 s60, 1, s60                                      // 0000000041F4: 81BC3C81
	v_mul_i32_i24_e64 v29, s60, 8                              // 0000000041F8: D106001D 0001103C
	v_mov_b32_e32 v30, s98                                     // 000000004200: 7E3C0262
	v_sub_u32_e64 v30, v30, 64                                 // 000000004204: D135001E 0001811E
	v_lshrrev_b32_e32 v30, 3, v30                              // 00000000420C: 203C3C83
	v_add_u32_e32 v29, v30, v29                                // 000000004210: 683A3B1E
	v_cmp_lt_u32_e64 s[92:93], v28, v29                        // 000000004214: D0C9005C 00023B1C
	s_mov_b32 s90, -1                                          // 00000000421C: BEDA00C1
	s_mov_b32 s91, -1                                          // 000000004220: BEDB00C1
	v_and_b32_e32 v28, 15, v0                                  // 000000004224: 2638008F
	v_mov_b32_e32 v29, s98                                     // 000000004228: 7E3A0262
	v_lshrrev_b32_e32 v29, 3, v29                              // 00000000422C: 203A3A83
	v_cmp_lt_u32_e64 s[94:95], v28, v29                        // 000000004230: D0C9005E 00023B1C
	v_and_b32_e32 v28, 31, v0                                  // 000000004238: 2638009F
	v_lshrrev_b32_e32 v28, 2, v28                              // 00000000423C: 20383882
	v_mov_b32_e32 v29, s98                                     // 000000004240: 7E3A0262
	v_sub_u32_e64 v29, v29, 64                                 // 000000004244: D135001D 0001811D
	v_lshrrev_b32_e32 v29, 3, v29                              // 00000000424C: 203A3A83
	v_cmp_lt_u32_e64 s[96:97], v28, v29                        // 000000004250: D0C90060 00023B1C

0000000000004258 <label_0116>:
	s_mov_b32 m0, s78                                          // 000000004258: BEFC004E
	s_mov_b32 s66, 0                                           // 00000000425C: BEC20080
	v_mov_b32_e32 v151, 0xff800000                             // 000000004260: 7F2E02FF FF800000
	s_mov_b32 s74, 0                                           // 000000004268: BECA0080
	s_mul_i32 s68, 16, s70                                     // 00000000426C: 92444690
	s_mov_b32 s69, 16                                          // 000000004270: BEC50090
	s_mul_i32 s60, s2, s51                                     // 000000004274: 923C3302
	s_mul_i32 s61, s45, s5                                     // 000000004278: 923D052D
	s_add_u32 s54, s60, s61                                    // 00000000427C: 80363D3C
	s_mul_i32 s61, s3, s52                                     // 000000004280: 923D3403
	s_mov_b32 s55, s61                                         // 000000004284: BEB7003D
	s_mul_i32 s60, 0xc0, s2                                    // 000000004288: 923C02FF 000000C0
	s_mul_i32 s60, s70, s60                                    // 000000004290: 923C3C46
	s_add_u32 s55, s60, s55                                    // 000000004294: 8037373C
	s_mov_b32 s56, s55                                         // 000000004298: BEB80037
	s_mul_i32 s59, 0xc0, s2                                    // 00000000429C: 923B02FF 000000C0
	s_add_u32 s73, 16, s59                                     // 0000000042A4: 80493B90
	s_cmp_lt_u32 s53, s70                                      // 0000000042A8: BF0A4635
	s_cbranch_scc0 label_0150                                  // 0000000042AC: BF840024
	s_mov_b32 s71, s53                                         // 0000000042B0: BEC70035
	v_cvt_f32_u32_e32 v28, s98                                 // 0000000042B4: 7E380C62
	s_sub_i32 s60, 0, s98                                      // 0000000042B8: 81BC6280
	v_rcp_iflag_f32_e32 v28, v28                               // 0000000042BC: 7E38471C
	s_nop 0                                                    // 0000000042C0: BF800000
	v_mul_f32_e32 v28, 0x4f7ffffe, v28                         // 0000000042C4: 0A3838FF 4F7FFFFE
	v_cvt_u32_f32_e32 v28, v28                                 // 0000000042CC: 7E380F1C
	v_mul_lo_u32 v29, s60, v28                                 // 0000000042D0: D285001D 0002383C
	v_mul_hi_u32 v29, v28, v29                                 // 0000000042D8: D286001D 00023B1C
	v_add_u32_e32 v28, v28, v29                                // 0000000042E0: 68383B1C
	v_mul_hi_u32 v28, s71, v28                                 // 0000000042E4: D286001C 00023847
	v_mul_lo_u32 v29, v28, s98                                 // 0000000042EC: D285001D 0000C51C
	v_sub_u32_e32 v31, s71, v29                                // 0000000042F4: 6A3E3A47
	v_add_u32_e32 v30, 1, v28                                  // 0000000042F8: 683C3881
	v_cmp_le_u32_e32 vcc, s98, v31                             // 0000000042FC: 7D963E62
	v_subrev_u32_e32 v29, s98, v31                             // 000000004300: 6C3A3E62
	s_nop 0                                                    // 000000004304: BF800000
	v_cndmask_b32_e32 v28, v28, v30, vcc                       // 000000004308: 00383D1C
	v_cndmask_b32_e32 v31, v31, v29, vcc                       // 00000000430C: 003E3B1F
	v_add_u32_e32 v29, 1, v28                                  // 000000004310: 683A3881
	v_cmp_le_u32_e32 vcc, s98, v31                             // 000000004314: 7D963E62
	s_nop 1                                                    // 000000004318: BF800001
	v_cndmask_b32_e32 v31, v28, v29, vcc                       // 00000000431C: 003E3B1C
	s_nop 3                                                    // 000000004320: BF800003
	v_readfirstlane_b32 s72, v31                               // 000000004324: 7E90051F
	s_nop 3                                                    // 000000004328: BF800003
	s_mul_i32 s62, s4, s72                                     // 00000000432C: 923E4804
	s_lshr_b32 s62, s62, 1                                     // 000000004330: 8F3E813E
	s_mul_i32 s62, s62, s50                                    // 000000004334: 923E323E
	s_lshl_b32 s62, s62, 2                                     // 000000004338: 8E3E823E
	s_branch label_0171                                        // 00000000433C: BF820021

0000000000004340 <label_0150>:
	s_mov_b32 s71, s53                                         // 000000004340: BEC70035
	v_cvt_f32_u32_e32 v28, s98                                 // 000000004344: 7E380C62
	s_sub_i32 s60, 0, s98                                      // 000000004348: 81BC6280
	v_rcp_iflag_f32_e32 v28, v28                               // 00000000434C: 7E38471C
	s_nop 0                                                    // 000000004350: BF800000
	v_mul_f32_e32 v28, 0x4f7ffffe, v28                         // 000000004354: 0A3838FF 4F7FFFFE
	v_cvt_u32_f32_e32 v28, v28                                 // 00000000435C: 7E380F1C
	v_mul_lo_u32 v29, s60, v28                                 // 000000004360: D285001D 0002383C
	v_mul_hi_u32 v29, v28, v29                                 // 000000004368: D286001D 00023B1C
	v_add_u32_e32 v28, v28, v29                                // 000000004370: 68383B1C
	v_mul_hi_u32 v28, s71, v28                                 // 000000004374: D286001C 00023847
	v_mul_lo_u32 v29, v28, s98                                 // 00000000437C: D285001D 0000C51C
	v_sub_u32_e32 v31, s71, v29                                // 000000004384: 6A3E3A47
	v_add_u32_e32 v30, 1, v28                                  // 000000004388: 683C3881
	v_cmp_le_u32_e32 vcc, s98, v31                             // 00000000438C: 7D963E62
	v_subrev_u32_e32 v29, s98, v31                             // 000000004390: 6C3A3E62
	s_nop 0                                                    // 000000004394: BF800000
	v_cndmask_b32_e32 v28, v28, v30, vcc                       // 000000004398: 00383D1C
	v_cndmask_b32_e32 v31, v31, v29, vcc                       // 00000000439C: 003E3B1F
	v_add_u32_e32 v29, 1, v28                                  // 0000000043A0: 683A3881
	v_cmp_le_u32_e32 vcc, s98, v31                             // 0000000043A4: 7D963E62
	s_nop 1                                                    // 0000000043A8: BF800001
	v_cndmask_b32_e32 v31, v28, v29, vcc                       // 0000000043AC: 003E3B1C
	s_nop 3                                                    // 0000000043B0: BF800003
	v_readfirstlane_b32 s72, v31                               // 0000000043B4: 7E90051F
	s_nop 3                                                    // 0000000043B8: BF800003
	s_mul_i32 s62, s4, s72                                     // 0000000043BC: 923E4804
	s_lshl_b32 s62, s62, 1                                     // 0000000043C0: 8E3E813E

00000000000043c4 <label_0171>:
	s_mul_i32 s61, s3, s50                                     // 0000000043C4: 923D3203
	s_mul_i32 s61, 4, s61                                      // 0000000043C8: 923D3D84
	s_add_u32 s65, s61, s62                                    // 0000000043CC: 80413E3D
	s_mul_i32 s60, 0x300, s2                                   // 0000000043D0: 923C02FF 00000300
	s_add_u32 s65, s60, s65                                    // 0000000043D8: 8041413C
	s_mov_b32 s71, s7                                          // 0000000043DC: BEC70007
	v_lshrrev_b32_e32 v28, 4, v0                               // 0000000043E0: 20380084
	v_and_b32_e32 v29, 1, v28                                  // 0000000043E4: 263A3881
	v_lshlrev_b32_e32 v29, 1, v29                              // 0000000043E8: 243A3A81
	v_mul_i32_i24_e32 v29, s71, v29                            // 0000000043EC: 0C3A3A47
	v_and_b32_e32 v30, 2, v28                                  // 0000000043F0: 263C3882
	v_lshlrev_b32_e32 v30, 5, v30                              // 0000000043F4: 243C3C85
	v_add_u32_e32 v29, v30, v29                                // 0000000043F8: 683A3B1E
	v_and_b32_e32 v28, 15, v0                                  // 0000000043FC: 2638008F
	v_lshlrev_b32_e32 v28, 2, v28                              // 000000004400: 24383882
	v_add_u32_e32 v1, v28, v29                                 // 000000004404: 68023B1C
	s_and_b32 s60, 1, s47                                      // 000000004408: 863C2F81
	s_mul_i32 s60, s60, s71                                    // 00000000440C: 923C473C
	s_mul_i32 s60, s60, 8                                      // 000000004410: 923C883C
	s_lshr_b32 s61, s47, 1                                     // 000000004414: 8F3D812F
	s_mul_i32 s61, s61, 0x80                                   // 000000004418: 923DFF3D 00000080
	s_add_u32 s60, s60, s61                                    // 000000004420: 803C3D3C
	v_add_u32_e32 v1, s60, v1                                  // 000000004424: 6802023C
	v_add_u32_e32 v2, s71, v1                                  // 000000004428: 68040247
	s_mul_i32 s60, 4, s71                                      // 00000000442C: 923C4784
	v_add_u32_e32 v3, s60, v1                                  // 000000004430: 6806023C
	v_add_u32_e32 v4, s60, v2                                  // 000000004434: 6808043C
	v_lshrrev_b32_e32 v1, 2, v1                                // 000000004438: 20020282
	v_lshrrev_b32_e32 v2, 2, v2                                // 00000000443C: 20040482
	v_lshrrev_b32_e32 v3, 2, v3                                // 000000004440: 20060682
	v_lshrrev_b32_e32 v4, 2, v4                                // 000000004444: 20080882
	s_add_u32 s12, s54, s82                                    // 000000004448: 800C5236
	s_addc_u32 s13, 0, s83                                     // 00000000444C: 820D5380
	s_mul_i32 s60, s4, s6                                      // 000000004450: 923C0604
	s_mul_hi_u32 s61, s4, s6                                   // 000000004454: 963D0604
	s_and_b32 s61, s61, 0xffff                                 // 000000004458: 863DFF3D 0000FFFF
	s_add_u32 s12, s12, s60                                    // 000000004460: 800C3C0C
	s_addc_u32 s13, s13, s61                                   // 000000004464: 820D3D0D
	s_add_u32 s16, s54, s84                                    // 000000004468: 80105436
	s_addc_u32 s17, 0, s85                                     // 00000000446C: 82115580
	s_mul_i32 s60, s4, s6                                      // 000000004470: 923C0604
	s_mul_hi_u32 s61, s4, s6                                   // 000000004474: 963D0604
	s_and_b32 s61, s61, 0xffff                                 // 000000004478: 863DFF3D 0000FFFF
	s_add_u32 s16, s16, s60                                    // 000000004480: 80103C10
	s_addc_u32 s17, s17, s61                                   // 000000004484: 82113D11
	s_add_u32 s8, s55, s80                                     // 000000004488: 80085037
	s_addc_u32 s9, 0, s81                                      // 00000000448C: 82095180
	s_mul_i32 s60, s4, s53                                     // 000000004490: 923C3504
	s_mul_hi_u32 s61, s4, s53                                  // 000000004494: 963D3504
	s_and_b32 s61, s61, 0xffff                                 // 000000004498: 863DFF3D 0000FFFF
	s_add_u32 s8, s8, s60                                      // 0000000044A0: 80083C08
	s_addc_u32 s9, s9, s61                                     // 0000000044A4: 82093D09
	s_add_u32 s20, s56, s86                                    // 0000000044A8: 80145638
	s_addc_u32 s21, 0, s87                                     // 0000000044AC: 82155780
	s_mul_i32 s60, s4, s53                                     // 0000000044B0: 923C3504
	s_mul_hi_u32 s61, s4, s53                                  // 0000000044B4: 963D3504
	s_and_b32 s61, s61, 0xffff                                 // 0000000044B8: 863DFF3D 0000FFFF
	s_add_u32 s20, s20, s60                                    // 0000000044C0: 80143C14
	s_addc_u32 s21, s21, s61                                   // 0000000044C4: 82153D15
	v_and_b32_e32 v9, 15, v0                                   // 0000000044C8: 2612008F
	v_lshlrev_b32_e32 v9, 2, v9                                // 0000000044CC: 24121282
	v_add_u32_e32 v9, s65, v9                                  // 0000000044D0: 68121241
	v_lshrrev_b32_e32 v9, 2, v9                                // 0000000044D4: 20121282
	v_lshrrev_b32_e32 v28, 4, v0                               // 0000000044D8: 20380084
	v_mul_i32_i24_e32 v5, s46, v28                             // 0000000044DC: 0C0A382E
	v_lshrrev_b32_e32 v5, 2, v5                                // 0000000044E0: 200A0A82
	v_and_b32_e32 v28, 15, v0                                  // 0000000044E4: 2638008F
	v_lshlrev_b32_e32 v29, 2, v28                              // 0000000044E8: 243A3882
	v_add_u32_e32 v5, v29, v5                                  // 0000000044EC: 680A0B1D
	s_mul_i32 s60, 16, s46                                     // 0000000044F0: 923C2E90
	s_mul_i32 s60, s47, s60                                    // 0000000044F4: 923C3C2F
	v_lshlrev_b32_e32 v5, 2, v5                                // 0000000044F8: 240A0A82
	v_add_u32_e32 v5, s60, v5                                  // 0000000044FC: 680A0A3C
	s_mul_i32 s60, 0xc0, s46                                   // 000000004500: 923C2EFF 000000C0
	s_mul_i32 s60, s2, s60                                     // 000000004508: 923C3C02
	s_mul_i32 s61, s3, s5                                      // 00000000450C: 923D0503
	s_mul_i32 s62, s4, s6                                      // 000000004510: 923E0604
	s_mul_i32 s62, s62, s44                                    // 000000004514: 923E2C3E
	s_add_u32 s60, s60, s61                                    // 000000004518: 803C3D3C
	s_add_u32 s60, s60, s62                                    // 00000000451C: 803C3E3C
	v_add_u32_e32 v5, s60, v5                                  // 000000004520: 680A0A3C
	v_lshrrev_b32_e32 v5, 2, v5                                // 000000004524: 200A0A82
	v_mov_b32_e32 v6, v5                                       // 000000004528: 7E0C0305
	v_lshrrev_b32_e32 v28, 5, v0                               // 00000000452C: 20380085
	v_mul_i32_i24_e32 v7, s70, v28                             // 000000004530: 0C0E3846
	v_lshrrev_b32_e32 v7, 2, v7                                // 000000004534: 200E0E82
	v_and_b32_e32 v28, 31, v0                                  // 000000004538: 2638009F
	v_add_u32_e32 v7, v28, v7                                  // 00000000453C: 680E0F1C
	s_mul_i32 s60, s47, s70                                    // 000000004540: 923C462F
	v_add_u32_e32 v7, s60, v7                                  // 000000004544: 680E0E3C
	v_lshlrev_b32_e32 v7, 2, v7                                // 000000004548: 240E0E82
	s_mul_i32 s60, 2, s70                                      // 00000000454C: 923C4682
	v_add_u32_e32 v8, s60, v7                                  // 000000004550: 68100E3C
	s_mov_b32 s60, s55                                         // 000000004554: BEBC0037
	s_mul_i32 s62, s4, s53                                     // 000000004558: 923E3504
	s_add_u32 s60, s60, s62                                    // 00000000455C: 803C3E3C
	v_add_u32_e32 v7, s60, v7                                  // 000000004560: 680E0E3C
	v_lshrrev_b32_e32 v7, 2, v7                                // 000000004564: 200E0E82
	v_add_u32_e32 v8, s60, v8                                  // 000000004568: 6810103C
	v_lshrrev_b32_e32 v8, 2, v8                                // 00000000456C: 20101082
	s_mul_i32 s60, 3, s2                                       // 000000004570: 923C0283
	s_lshr_b32 s61, s50, 6                                     // 000000004574: 8F3D8632
	s_sub_i32 s72, s61, s60                                    // 000000004578: 81C83C3D
	s_cmp_lt_i32 s72, 3                                        // 00000000457C: BF048348
	s_cselect_b32 s72, s72, 3                                  // 000000004580: 85488348
	v_and_b32_e32 v28, 31, v0                                  // 000000004584: 2638009F
	v_lshrrev_b32_e32 v28, 1, v28                              // 000000004588: 20383881
	v_and_b32_e32 v29, 1, v28                                  // 00000000458C: 263A3881
	v_lshlrev_b32_e32 v29, 4, v29                              // 000000004590: 243A3A84
	v_and_b32_e32 v30, 2, v28                                  // 000000004594: 263C3882
	v_lshlrev_b32_e32 v30, 2, v30                              // 000000004598: 243C3C82
	v_add_u32_e32 v29, v30, v29                                // 00000000459C: 683A3B1E
	v_and_b32_e32 v30, 12, v28                                 // 0000000045A0: 263C388C
	v_lshrrev_b32_e32 v30, 1, v30                              // 0000000045A4: 203C3C81
	v_add_u32_e32 v29, v30, v29                                // 0000000045A8: 683A3B1E
	v_lshrrev_b32_e32 v28, 5, v0                               // 0000000045AC: 20380085
	v_mul_i32_i24_e32 v30, 0x80, v28                           // 0000000045B0: 0C3C38FF 00000080
	v_add_u32_e32 v29, v30, v29                                // 0000000045B8: 683A3B1E
	v_and_b32_e32 v30, 1, v0                                   // 0000000045BC: 263C0081
	v_add_u32_e32 v11, v30, v29                                // 0000000045C0: 68163B1E
	s_and_b32 s60, 1, s47                                      // 0000000045C4: 863C2F81
	s_mul_i32 s60, s60, 64                                     // 0000000045C8: 923CC03C
	s_lshr_b32 s61, s47, 1                                     // 0000000045CC: 8F3D812F
	s_mul_i32 s61, s61, 0x220                                  // 0000000045D0: 923DFF3D 00000220
	s_add_u32 s60, s60, s61                                    // 0000000045D8: 803C3D3C
	v_add_u32_e32 v11, s60, v11                                // 0000000045DC: 6816163C
	v_lshlrev_b32_e32 v11, 2, v11                              // 0000000045E0: 24161682
	v_lshrrev_b32_e32 v28, 4, v0                               // 0000000045E4: 20380084
	v_and_b32_e32 v29, 1, v28                                  // 0000000045E8: 263A3881
	v_lshlrev_b32_e32 v29, 4, v29                              // 0000000045EC: 243A3A84
	v_and_b32_e32 v30, 2, v28                                  // 0000000045F0: 263C3882
	v_mul_i32_i24_e32 v30, 4, v30                              // 0000000045F4: 0C3C3C84
	v_add_u32_e32 v29, v30, v29                                // 0000000045F8: 683A3B1E
	v_and_b32_e32 v28, 15, v0                                  // 0000000045FC: 2638008F
	v_lshrrev_b32_e32 v30, 2, v28                              // 000000004600: 203C3882
	v_lshlrev_b32_e32 v30, 5, v30                              // 000000004604: 243C3C85
	v_add_u32_e32 v29, v30, v29                                // 000000004608: 683A3B1E
	v_and_b32_e32 v28, 3, v0                                   // 00000000460C: 26380083
	v_and_b32_e32 v30, 1, v28                                  // 000000004610: 263C3881
	v_mul_i32_i24_e32 v30, 0x108, v30                          // 000000004614: 0C3C3CFF 00000108
	v_add_u32_e32 v29, v30, v29                                // 00000000461C: 683A3B1E
	v_and_b32_e32 v30, 2, v28                                  // 000000004620: 263C3882
	v_lshlrev_b32_e32 v30, 1, v30                              // 000000004624: 243C3C81
	v_add_u32_e32 v10, v30, v29                                // 000000004628: 68143B1E
	v_lshlrev_b32_e32 v10, 2, v10                              // 00000000462C: 24141482
	s_mul_i32 s60, s47, 0x1100                                 // 000000004630: 923CFF2F 00001100
	v_add_u32_e32 v22, s60, v10                                // 000000004638: 682C143C
	v_lshrrev_b32_e32 v28, 5, v0                               // 00000000463C: 20380085
	v_mul_i32_i24_e32 v13, 0x80, v28                           // 000000004640: 0C1A38FF 00000080
	v_and_b32_e32 v28, 31, v0                                  // 000000004648: 2638009F
	v_and_b32_e32 v29, 7, v28                                  // 00000000464C: 263A3887
	v_and_b32_e32 v30, 1, v29                                  // 000000004650: 263C3A81
	v_lshlrev_b32_e32 v30, 2, v30                              // 000000004654: 243C3C82
	v_add_u32_e32 v13, v30, v13                                // 000000004658: 681A1B1E
	v_and_b32_e32 v30, 2, v29                                  // 00000000465C: 263C3A82
	v_lshlrev_b32_e32 v30, 3, v30                              // 000000004660: 243C3C83
	v_add_u32_e32 v13, v30, v13                                // 000000004664: 681A1B1E
	v_and_b32_e32 v30, 4, v29                                  // 000000004668: 263C3A84
	v_lshlrev_b32_e32 v30, 1, v30                              // 00000000466C: 243C3C81
	v_add_u32_e32 v13, v30, v13                                // 000000004670: 681A1B1E
	v_lshrrev_b32_e32 v29, 3, v28                              // 000000004674: 203A3883
	v_and_b32_e32 v30, 1, v29                                  // 000000004678: 263C3A81
	v_lshlrev_b32_e32 v30, 1, v30                              // 00000000467C: 243C3C81
	v_add_u32_e32 v13, v30, v13                                // 000000004680: 681A1B1E
	v_and_b32_e32 v30, 2, v29                                  // 000000004684: 263C3A82
	v_lshrrev_b32_e32 v30, 1, v30                              // 000000004688: 203C3C81
	v_add_u32_e32 v13, v30, v13                                // 00000000468C: 681A1B1E
	s_and_b32 s60, 1, s47                                      // 000000004690: 863C2F81
	s_mul_i32 s60, s60, 64                                     // 000000004694: 923CC03C
	s_lshr_b32 s61, s47, 1                                     // 000000004698: 8F3D812F
	s_mul_i32 s61, s61, 0x220                                  // 00000000469C: 923DFF3D 00000220
	s_add_u32 s60, s60, s61                                    // 0000000046A4: 803C3D3C
	v_add_u32_e32 v13, s60, v13                                // 0000000046A8: 681A1A3C
	v_lshlrev_b32_e32 v13, 2, v13                              // 0000000046AC: 241A1A82
	v_and_b32_e32 v28, 15, v0                                  // 0000000046B0: 2638008F
	v_and_b32_e32 v30, 1, v28                                  // 0000000046B4: 263C3881
	v_mul_i32_i24_e32 v12, 0x108, v30                          // 0000000046B8: 0C183CFF 00000108
	v_and_b32_e32 v30, 2, v28                                  // 0000000046C0: 263C3882
	v_lshlrev_b32_e32 v30, 1, v30                              // 0000000046C4: 243C3C81
	v_add_u32_e32 v12, v30, v12                                // 0000000046C8: 6818191E
	v_and_b32_e32 v30, 4, v28                                  // 0000000046CC: 263C3884
	v_lshlrev_b32_e32 v30, 2, v30                              // 0000000046D0: 243C3C82
	v_add_u32_e32 v12, v30, v12                                // 0000000046D4: 6818191E
	v_and_b32_e32 v30, 8, v28                                  // 0000000046D8: 263C3888
	v_add_u32_e32 v12, v30, v12                                // 0000000046DC: 6818191E
	v_lshrrev_b32_e32 v28, 4, v0                               // 0000000046E0: 20380084
	v_and_b32_e32 v30, 1, v28                                  // 0000000046E4: 263C3881
	v_lshlrev_b32_e32 v30, 5, v30                              // 0000000046E8: 243C3C85
	v_add_u32_e32 v12, v30, v12                                // 0000000046EC: 6818191E
	v_and_b32_e32 v29, 2, v28                                  // 0000000046F0: 263A3882
	v_mul_i32_i24_e32 v30, 32, v29                             // 0000000046F4: 0C3C3AA0
	v_mul_i32_i24_e32 v29, 0x220, v29                          // 0000000046F8: 0C3A3AFF 00000220
	v_add_u32_e32 v23, v29, v12                                // 000000004700: 682E191D
	v_add_u32_e32 v12, v30, v12                                // 000000004704: 6818191E
	v_lshlrev_b32_e32 v12, 2, v12                              // 000000004708: 24181882
	v_lshlrev_b32_e32 v23, 2, v23                              // 00000000470C: 242E2E82
	s_and_b32 s60, 1, s47                                      // 000000004710: 863C2F81
	s_mul_i32 s60, s60, 0x200                                  // 000000004714: 923CFF3C 00000200
	s_lshr_b32 s61, s47, 1                                     // 00000000471C: 8F3D812F
	s_mul_i32 s61, s61, 0x880                                  // 000000004720: 923DFF3D 00000880
	s_add_u32 s60, s60, s61                                    // 000000004728: 803C3D3C
	v_add_u32_e32 v23, s60, v23                                // 00000000472C: 682E2E3C
	v_lshrrev_b32_e32 v28, 4, v0                               // 000000004730: 20380084
	v_mul_i32_i24_e32 v21, 4, v28                              // 000000004734: 0C2A3884
	v_and_b32_e32 v29, 3, v0                                   // 000000004738: 263A0083
	v_add_u32_e32 v21, v29, v21                                // 00000000473C: 682A2B1D
	v_lshlrev_b32_e32 v21, 2, v21                              // 000000004740: 242A2A82
	v_lshrrev_b32_e32 v28, 5, v0                               // 000000004744: 20380085
	v_mul_i32_i24_e32 v19, 2, v28                              // 000000004748: 0C263882
	v_and_b32_e32 v28, 31, v0                                  // 00000000474C: 2638009F
	v_lshrrev_b32_e32 v28, 1, v28                              // 000000004750: 20383881
	v_mul_i32_i24_e32 v29, 34, v28                             // 000000004754: 0C3A38A2
	v_add_u32_e32 v19, v29, v19                                // 000000004758: 6826271D
	v_and_b32_e32 v29, 1, v0                                   // 00000000475C: 263A0081
	v_add_u32_e32 v19, v29, v19                                // 000000004760: 6826271D
	s_mul_i32 s60, s47, 8                                      // 000000004764: 923C882F
	v_add_u32_e32 v19, s60, v19                                // 000000004768: 6826263C
	v_lshlrev_b32_e32 v19, 2, v19                              // 00000000476C: 24262682
	v_lshrrev_b32_e32 v28, 4, v0                               // 000000004770: 20380084
	v_mul_i32_i24_e32 v20, 34, v28                             // 000000004774: 0C2838A2
	v_and_b32_e32 v28, 15, v0                                  // 000000004778: 2638008F
	v_mul_i32_i24_e32 v29, 2, v28                              // 00000000477C: 0C3A3882
	v_add_u32_e32 v20, v29, v20                                // 000000004780: 6828291D
	s_mul_i32 s60, s47, 0x110                                  // 000000004784: 923CFF2F 00000110
	v_add_u32_e32 v20, s60, v20                                // 00000000478C: 6828283C
	v_lshlrev_b32_e32 v20, 2, v20                              // 000000004790: 24282882
	v_lshrrev_b32_e32 v28, 5, v0                               // 000000004794: 20380085
	v_mul_i32_i24_e32 v17, 64, v28                             // 000000004798: 0C2238C0
	v_and_b32_e32 v28, 31, v0                                  // 00000000479C: 2638009F
	v_and_b32_e32 v28, 3, v28                                  // 0000000047A0: 26383883
	v_and_b32_e32 v29, 1, v28                                  // 0000000047A4: 263A3881
	v_mul_i32_i24_e32 v29, 4, v29                              // 0000000047A8: 0C3A3A84
	v_add_u32_e32 v17, v29, v17                                // 0000000047AC: 6822231D
	v_and_b32_e32 v29, 2, v28                                  // 0000000047B0: 263A3882
	v_mul_i32_i24_e32 v29, 0x44, v29                           // 0000000047B4: 0C3A3AFF 00000044
	v_add_u32_e32 v17, v29, v17                                // 0000000047BC: 6822231D
	v_and_b32_e32 v28, 31, v0                                  // 0000000047C0: 2638009F
	v_lshrrev_b32_e32 v28, 2, v28                              // 0000000047C4: 20383882
	v_lshrrev_b32_e32 v30, 2, v28                              // 0000000047C8: 203C3882
	v_mul_i32_i24_e32 v29, 16, v30                             // 0000000047CC: 0C3A3C90
	v_add_u32_e32 v17, v29, v17                                // 0000000047D0: 6822231D
	v_and_b32_e32 v29, 2, v28                                  // 0000000047D4: 263A3882
	v_lshlrev_b32_e32 v29, 4, v29                              // 0000000047D8: 243A3A84
	v_add_u32_e32 v17, v29, v17                                // 0000000047DC: 6822231D
	v_and_b32_e32 v29, 1, v28                                  // 0000000047E0: 263A3881
	v_xor_b32_e32 v29, v30, v29                                // 0000000047E4: 2A3A3B1E
	v_mul_i32_i24_e32 v29, 8, v29                              // 0000000047E8: 0C3A3A88
	v_add_u32_e32 v17, v29, v17                                // 0000000047EC: 6822231D
	v_lshlrev_b32_e32 v17, 2, v17                              // 0000000047F0: 24222282
	v_lshrrev_b32_e32 v28, 5, v0                               // 0000000047F4: 20380085
	v_mul_i32_i24_e32 v18, 32, v28                             // 0000000047F8: 0C2438A0
	v_and_b32_e32 v28, 31, v0                                  // 0000000047FC: 2638009F
	v_and_b32_e32 v28, 3, v28                                  // 000000004800: 26383883
	v_and_b32_e32 v29, 1, v28                                  // 000000004804: 263A3881
	v_mul_i32_i24_e32 v29, 4, v29                              // 000000004808: 0C3A3A84
	v_add_u32_e32 v18, v29, v18                                // 00000000480C: 6824251D
	v_and_b32_e32 v29, 2, v28                                  // 000000004810: 263A3882
	v_lshrrev_b32_e32 v29, 1, v29                              // 000000004814: 203A3A81
	v_add_u32_e32 v18, v29, v18                                // 000000004818: 6824251D
	v_and_b32_e32 v28, 31, v0                                  // 00000000481C: 2638009F
	v_lshrrev_b32_e32 v28, 2, v28                              // 000000004820: 20383882
	v_and_b32_e32 v30, 1, v28                                  // 000000004824: 263C3881
	v_mul_i32_i24_e32 v29, 16, v30                             // 000000004828: 0C3A3C90
	v_add_u32_e32 v18, v29, v18                                // 00000000482C: 6824251D
	v_and_b32_e32 v29, 2, v28                                  // 000000004830: 263A3882
	v_add_u32_e32 v18, v29, v18                                // 000000004834: 6824251D
	v_lshrrev_b32_e32 v29, 2, v28                              // 000000004838: 203A3882
	v_xor_b32_e32 v29, v30, v29                                // 00000000483C: 2A3A3B1E
	v_mul_i32_i24_e32 v29, 8, v29                              // 000000004840: 0C3A3A88
	v_add_u32_e32 v18, v29, v18                                // 000000004844: 6824251D
	s_and_b32 s60, 1, s47                                      // 000000004848: 863C2F81
	s_mul_i32 s60, s60, 64                                     // 00000000484C: 923CC03C
	s_lshr_b32 s61, s47, 1                                     // 000000004850: 8F3D812F
	s_mul_i32 s61, s61, 0x120                                  // 000000004854: 923DFF3D 00000120
	s_add_u32 s60, s60, s61                                    // 00000000485C: 803C3D3C
	v_add_u32_e32 v18, s60, v18                                // 000000004860: 6824243C
	v_lshlrev_b32_e32 v18, 2, v18                              // 000000004864: 24242482
	v_mov_b32_e32 v152, 0                                      // 000000004868: 7F300280
	s_mov_b64 exec, s[92:93]                                   // 00000000486C: BEFE015C
	buffer_load_dword v152, v1, s[12:15], 0 idxen              // 000000004870: E0502000 80039801
	s_mov_b64 exec, s[90:91]                                   // 000000004878: BEFE015A
	v_mov_b32_e32 v153, 0                                      // 00000000487C: 7F320280
	s_mov_b64 exec, s[92:93]                                   // 000000004880: BEFE015C
	buffer_load_dword v153, v2, s[12:15], 0 idxen              // 000000004884: E0502000 80039902
	s_mov_b64 exec, s[90:91]                                   // 00000000488C: BEFE015A
	v_mov_b32_e32 v154, 0                                      // 000000004890: 7F340280
	s_mov_b64 exec, s[92:93]                                   // 000000004894: BEFE015C
	buffer_load_dword v154, v3, s[12:15], 0 idxen              // 000000004898: E0502000 80039A03
	s_mov_b64 exec, s[90:91]                                   // 0000000048A0: BEFE015A
	v_mov_b32_e32 v155, 0                                      // 0000000048A4: 7F360280
	s_mov_b64 exec, s[92:93]                                   // 0000000048A8: BEFE015C
	buffer_load_dword v155, v4, s[12:15], 0 idxen              // 0000000048AC: E0502000 80039B04
	s_mov_b64 exec, s[90:91]                                   // 0000000048B4: BEFE015A
	s_mul_i32 s60, 16, s7                                      // 0000000048B8: 923C0790
	s_cmp_lt_i32 0, s72                                        // 0000000048BC: BF044880
	s_cselect_b32 s60, s60, 0                                  // 0000000048C0: 853C803C
	s_add_u32 s12, s60, s12                                    // 0000000048C4: 800C0C3C
	s_addc_u32 s13, 0, s13                                     // 0000000048C8: 820D0D80
	v_mov_b32_e32 v156, 0                                      // 0000000048CC: 7F380280
	s_mov_b64 exec, s[92:93]                                   // 0000000048D0: BEFE015C
	buffer_load_dword v156, v1, s[12:15], 0 idxen              // 0000000048D4: E0502000 80039C01
	s_mov_b64 exec, s[90:91]                                   // 0000000048DC: BEFE015A
	v_mov_b32_e32 v157, 0                                      // 0000000048E0: 7F3A0280
	s_mov_b64 exec, s[92:93]                                   // 0000000048E4: BEFE015C
	buffer_load_dword v157, v2, s[12:15], 0 idxen              // 0000000048E8: E0502000 80039D02
	s_mov_b64 exec, s[90:91]                                   // 0000000048F0: BEFE015A
	v_mov_b32_e32 v158, 0                                      // 0000000048F4: 7F3C0280
	s_mov_b64 exec, s[92:93]                                   // 0000000048F8: BEFE015C
	buffer_load_dword v158, v3, s[12:15], 0 idxen              // 0000000048FC: E0502000 80039E03
	s_mov_b64 exec, s[90:91]                                   // 000000004904: BEFE015A
	v_mov_b32_e32 v159, 0                                      // 000000004908: 7F3E0280
	s_mov_b64 exec, s[92:93]                                   // 00000000490C: BEFE015C
	buffer_load_dword v159, v4, s[12:15], 0 idxen              // 000000004910: E0502000 80039F04
	s_mov_b64 exec, s[90:91]                                   // 000000004918: BEFE015A
	s_mul_i32 s60, 16, s7                                      // 00000000491C: 923C0790
	s_cmp_lt_i32 0, s72                                        // 000000004920: BF044880
	s_cselect_b32 s60, s60, 0                                  // 000000004924: 853C803C
	s_add_u32 s12, s60, s12                                    // 000000004928: 800C0C3C
	s_addc_u32 s13, 0, s13                                     // 00000000492C: 820D0D80
	v_mov_b32_e32 v160, 0                                      // 000000004930: 7F400280
	s_mov_b64 exec, s[92:93]                                   // 000000004934: BEFE015C
	buffer_load_dword v160, v1, s[12:15], 0 idxen              // 000000004938: E0502000 8003A001
	s_mov_b64 exec, s[90:91]                                   // 000000004940: BEFE015A
	v_mov_b32_e32 v161, 0                                      // 000000004944: 7F420280
	s_mov_b64 exec, s[92:93]                                   // 000000004948: BEFE015C
	buffer_load_dword v161, v2, s[12:15], 0 idxen              // 00000000494C: E0502000 8003A102
	s_mov_b64 exec, s[90:91]                                   // 000000004954: BEFE015A
	v_mov_b32_e32 v162, 0                                      // 000000004958: 7F440280
	s_mov_b64 exec, s[92:93]                                   // 00000000495C: BEFE015C
	buffer_load_dword v162, v3, s[12:15], 0 idxen              // 000000004960: E0502000 8003A203
	s_mov_b64 exec, s[90:91]                                   // 000000004968: BEFE015A
	v_mov_b32_e32 v163, 0                                      // 00000000496C: 7F460280
	s_mov_b64 exec, s[92:93]                                   // 000000004970: BEFE015C
	buffer_load_dword v163, v4, s[12:15], 0 idxen              // 000000004974: E0502000 8003A304
	s_mov_b64 exec, s[90:91]                                   // 00000000497C: BEFE015A
	s_mul_i32 s60, 16, s7                                      // 000000004980: 923C0790
	s_cmp_lt_i32 0, s72                                        // 000000004984: BF044880
	s_cselect_b32 s60, s60, 0                                  // 000000004988: 853C803C
	s_add_u32 s12, s60, s12                                    // 00000000498C: 800C0C3C
	s_addc_u32 s13, 0, s13                                     // 000000004990: 820D0D80
	v_mov_b32_e32 v164, 0                                      // 000000004994: 7F480280
	s_mov_b64 exec, s[92:93]                                   // 000000004998: BEFE015C
	buffer_load_dword v164, v1, s[12:15], 0 idxen              // 00000000499C: E0502000 8003A401
	s_mov_b64 exec, s[90:91]                                   // 0000000049A4: BEFE015A
	v_mov_b32_e32 v165, 0                                      // 0000000049A8: 7F4A0280
	s_mov_b64 exec, s[92:93]                                   // 0000000049AC: BEFE015C
	buffer_load_dword v165, v2, s[12:15], 0 idxen              // 0000000049B0: E0502000 8003A502
	s_mov_b64 exec, s[90:91]                                   // 0000000049B8: BEFE015A
	v_mov_b32_e32 v166, 0                                      // 0000000049BC: 7F4C0280
	s_mov_b64 exec, s[92:93]                                   // 0000000049C0: BEFE015C
	buffer_load_dword v166, v3, s[12:15], 0 idxen              // 0000000049C4: E0502000 8003A603
	s_mov_b64 exec, s[90:91]                                   // 0000000049CC: BEFE015A
	v_mov_b32_e32 v167, 0                                      // 0000000049D0: 7F4E0280
	s_mov_b64 exec, s[92:93]                                   // 0000000049D4: BEFE015C
	buffer_load_dword v167, v4, s[12:15], 0 idxen              // 0000000049D8: E0502000 8003A704
	s_mov_b64 exec, s[90:91]                                   // 0000000049E0: BEFE015A
	s_mul_i32 s60, 16, s7                                      // 0000000049E4: 923C0790
	s_cmp_lt_i32 1, s72                                        // 0000000049E8: BF044881
	s_cselect_b32 s60, s60, 0                                  // 0000000049EC: 853C803C
	s_add_u32 s12, s60, s12                                    // 0000000049F0: 800C0C3C
	s_addc_u32 s13, 0, s13                                     // 0000000049F4: 820D0D80
	v_mov_b32_e32 v168, 0                                      // 0000000049F8: 7F500280
	s_mov_b64 exec, s[92:93]                                   // 0000000049FC: BEFE015C
	buffer_load_dword v168, v1, s[12:15], 0 idxen              // 000000004A00: E0502000 8003A801
	s_mov_b64 exec, s[90:91]                                   // 000000004A08: BEFE015A
	v_mov_b32_e32 v169, 0                                      // 000000004A0C: 7F520280
	s_mov_b64 exec, s[92:93]                                   // 000000004A10: BEFE015C
	buffer_load_dword v169, v2, s[12:15], 0 idxen              // 000000004A14: E0502000 8003A902
	s_mov_b64 exec, s[90:91]                                   // 000000004A1C: BEFE015A
	v_mov_b32_e32 v170, 0                                      // 000000004A20: 7F540280
	s_mov_b64 exec, s[92:93]                                   // 000000004A24: BEFE015C
	buffer_load_dword v170, v3, s[12:15], 0 idxen              // 000000004A28: E0502000 8003AA03
	s_mov_b64 exec, s[90:91]                                   // 000000004A30: BEFE015A
	v_mov_b32_e32 v171, 0                                      // 000000004A34: 7F560280
	s_mov_b64 exec, s[92:93]                                   // 000000004A38: BEFE015C
	buffer_load_dword v171, v4, s[12:15], 0 idxen              // 000000004A3C: E0502000 8003AB04
	s_mov_b64 exec, s[90:91]                                   // 000000004A44: BEFE015A
	s_mul_i32 s60, 16, s7                                      // 000000004A48: 923C0790
	s_cmp_lt_i32 1, s72                                        // 000000004A4C: BF044881
	s_cselect_b32 s60, s60, 0                                  // 000000004A50: 853C803C
	s_add_u32 s12, s60, s12                                    // 000000004A54: 800C0C3C
	s_addc_u32 s13, 0, s13                                     // 000000004A58: 820D0D80
	v_mov_b32_e32 v172, 0                                      // 000000004A5C: 7F580280
	s_mov_b64 exec, s[92:93]                                   // 000000004A60: BEFE015C
	buffer_load_dword v172, v1, s[12:15], 0 idxen              // 000000004A64: E0502000 8003AC01
	s_mov_b64 exec, s[90:91]                                   // 000000004A6C: BEFE015A
	v_mov_b32_e32 v173, 0                                      // 000000004A70: 7F5A0280
	s_mov_b64 exec, s[92:93]                                   // 000000004A74: BEFE015C
	buffer_load_dword v173, v2, s[12:15], 0 idxen              // 000000004A78: E0502000 8003AD02
	s_mov_b64 exec, s[90:91]                                   // 000000004A80: BEFE015A
	v_mov_b32_e32 v174, 0                                      // 000000004A84: 7F5C0280
	s_mov_b64 exec, s[92:93]                                   // 000000004A88: BEFE015C
	buffer_load_dword v174, v3, s[12:15], 0 idxen              // 000000004A8C: E0502000 8003AE03
	s_mov_b64 exec, s[90:91]                                   // 000000004A94: BEFE015A
	v_mov_b32_e32 v175, 0                                      // 000000004A98: 7F5E0280
	s_mov_b64 exec, s[92:93]                                   // 000000004A9C: BEFE015C
	buffer_load_dword v175, v4, s[12:15], 0 idxen              // 000000004AA0: E0502000 8003AF04
	s_mov_b64 exec, s[90:91]                                   // 000000004AA8: BEFE015A
	s_mul_i32 s60, 16, s7                                      // 000000004AAC: 923C0790
	s_cmp_lt_i32 1, s72                                        // 000000004AB0: BF044881
	s_cselect_b32 s60, s60, 0                                  // 000000004AB4: 853C803C
	s_add_u32 s12, s60, s12                                    // 000000004AB8: 800C0C3C
	s_addc_u32 s13, 0, s13                                     // 000000004ABC: 820D0D80
	v_mov_b32_e32 v176, 0                                      // 000000004AC0: 7F600280
	s_mov_b64 exec, s[92:93]                                   // 000000004AC4: BEFE015C
	buffer_load_dword v176, v1, s[12:15], 0 idxen              // 000000004AC8: E0502000 8003B001
	s_mov_b64 exec, s[90:91]                                   // 000000004AD0: BEFE015A
	v_mov_b32_e32 v177, 0                                      // 000000004AD4: 7F620280
	s_mov_b64 exec, s[92:93]                                   // 000000004AD8: BEFE015C
	buffer_load_dword v177, v2, s[12:15], 0 idxen              // 000000004ADC: E0502000 8003B102
	s_mov_b64 exec, s[90:91]                                   // 000000004AE4: BEFE015A
	v_mov_b32_e32 v178, 0                                      // 000000004AE8: 7F640280
	s_mov_b64 exec, s[92:93]                                   // 000000004AEC: BEFE015C
	buffer_load_dword v178, v3, s[12:15], 0 idxen              // 000000004AF0: E0502000 8003B203
	s_mov_b64 exec, s[90:91]                                   // 000000004AF8: BEFE015A
	v_mov_b32_e32 v179, 0                                      // 000000004AFC: 7F660280
	s_mov_b64 exec, s[92:93]                                   // 000000004B00: BEFE015C
	buffer_load_dword v179, v4, s[12:15], 0 idxen              // 000000004B04: E0502000 8003B304
	s_mov_b64 exec, s[90:91]                                   // 000000004B0C: BEFE015A
	s_mul_i32 s60, 16, s7                                      // 000000004B10: 923C0790
	s_cmp_lt_i32 1, s72                                        // 000000004B14: BF044881
	s_cselect_b32 s60, s60, 0                                  // 000000004B18: 853C803C
	s_add_u32 s12, s60, s12                                    // 000000004B1C: 800C0C3C
	s_addc_u32 s13, 0, s13                                     // 000000004B20: 820D0D80
	v_mov_b32_e32 v180, 0                                      // 000000004B24: 7F680280
	s_mov_b64 exec, s[92:93]                                   // 000000004B28: BEFE015C
	buffer_load_dword v180, v1, s[12:15], 0 idxen              // 000000004B2C: E0502000 8003B401
	s_mov_b64 exec, s[90:91]                                   // 000000004B34: BEFE015A
	v_mov_b32_e32 v181, 0                                      // 000000004B38: 7F6A0280
	s_mov_b64 exec, s[92:93]                                   // 000000004B3C: BEFE015C
	buffer_load_dword v181, v2, s[12:15], 0 idxen              // 000000004B40: E0502000 8003B502
	s_mov_b64 exec, s[90:91]                                   // 000000004B48: BEFE015A
	v_mov_b32_e32 v182, 0                                      // 000000004B4C: 7F6C0280
	s_mov_b64 exec, s[92:93]                                   // 000000004B50: BEFE015C
	buffer_load_dword v182, v3, s[12:15], 0 idxen              // 000000004B54: E0502000 8003B603
	s_mov_b64 exec, s[90:91]                                   // 000000004B5C: BEFE015A
	v_mov_b32_e32 v183, 0                                      // 000000004B60: 7F6E0280
	s_mov_b64 exec, s[92:93]                                   // 000000004B64: BEFE015C
	buffer_load_dword v183, v4, s[12:15], 0 idxen              // 000000004B68: E0502000 8003B704
	s_mov_b64 exec, s[90:91]                                   // 000000004B70: BEFE015A
	s_mul_i32 s60, 16, s7                                      // 000000004B74: 923C0790
	s_cmp_lt_i32 2, s72                                        // 000000004B78: BF044882
	s_cselect_b32 s60, s60, 0                                  // 000000004B7C: 853C803C
	s_add_u32 s12, s60, s12                                    // 000000004B80: 800C0C3C
	s_addc_u32 s13, 0, s13                                     // 000000004B84: 820D0D80
	v_mov_b32_e32 v184, 0                                      // 000000004B88: 7F700280
	s_mov_b64 exec, s[92:93]                                   // 000000004B8C: BEFE015C
	buffer_load_dword v184, v1, s[12:15], 0 idxen              // 000000004B90: E0502000 8003B801
	s_mov_b64 exec, s[90:91]                                   // 000000004B98: BEFE015A
	v_mov_b32_e32 v185, 0                                      // 000000004B9C: 7F720280
	s_mov_b64 exec, s[92:93]                                   // 000000004BA0: BEFE015C
	buffer_load_dword v185, v2, s[12:15], 0 idxen              // 000000004BA4: E0502000 8003B902
	s_mov_b64 exec, s[90:91]                                   // 000000004BAC: BEFE015A
	v_mov_b32_e32 v186, 0                                      // 000000004BB0: 7F740280
	s_mov_b64 exec, s[92:93]                                   // 000000004BB4: BEFE015C
	buffer_load_dword v186, v3, s[12:15], 0 idxen              // 000000004BB8: E0502000 8003BA03
	s_mov_b64 exec, s[90:91]                                   // 000000004BC0: BEFE015A
	v_mov_b32_e32 v187, 0                                      // 000000004BC4: 7F760280
	s_mov_b64 exec, s[92:93]                                   // 000000004BC8: BEFE015C
	buffer_load_dword v187, v4, s[12:15], 0 idxen              // 000000004BCC: E0502000 8003BB04
	s_mov_b64 exec, s[90:91]                                   // 000000004BD4: BEFE015A
	s_mul_i32 s60, 16, s7                                      // 000000004BD8: 923C0790
	s_cmp_lt_i32 2, s72                                        // 000000004BDC: BF044882
	s_cselect_b32 s60, s60, 0                                  // 000000004BE0: 853C803C
	s_add_u32 s12, s60, s12                                    // 000000004BE4: 800C0C3C
	s_addc_u32 s13, 0, s13                                     // 000000004BE8: 820D0D80
	v_mov_b32_e32 v188, 0                                      // 000000004BEC: 7F780280
	s_mov_b64 exec, s[92:93]                                   // 000000004BF0: BEFE015C
	buffer_load_dword v188, v1, s[12:15], 0 idxen              // 000000004BF4: E0502000 8003BC01
	s_mov_b64 exec, s[90:91]                                   // 000000004BFC: BEFE015A
	v_mov_b32_e32 v189, 0                                      // 000000004C00: 7F7A0280
	s_mov_b64 exec, s[92:93]                                   // 000000004C04: BEFE015C
	buffer_load_dword v189, v2, s[12:15], 0 idxen              // 000000004C08: E0502000 8003BD02
	s_mov_b64 exec, s[90:91]                                   // 000000004C10: BEFE015A
	v_mov_b32_e32 v190, 0                                      // 000000004C14: 7F7C0280
	s_mov_b64 exec, s[92:93]                                   // 000000004C18: BEFE015C
	buffer_load_dword v190, v3, s[12:15], 0 idxen              // 000000004C1C: E0502000 8003BE03
	s_mov_b64 exec, s[90:91]                                   // 000000004C24: BEFE015A
	v_mov_b32_e32 v191, 0                                      // 000000004C28: 7F7E0280
	s_mov_b64 exec, s[92:93]                                   // 000000004C2C: BEFE015C
	buffer_load_dword v191, v4, s[12:15], 0 idxen              // 000000004C30: E0502000 8003BF04
	s_mov_b64 exec, s[90:91]                                   // 000000004C38: BEFE015A
	s_mul_i32 s60, 16, s7                                      // 000000004C3C: 923C0790
	s_cmp_lt_i32 2, s72                                        // 000000004C40: BF044882
	s_cselect_b32 s60, s60, 0                                  // 000000004C44: 853C803C
	s_add_u32 s12, s60, s12                                    // 000000004C48: 800C0C3C
	s_addc_u32 s13, 0, s13                                     // 000000004C4C: 820D0D80
	v_mov_b32_e32 v192, 0                                      // 000000004C50: 7F800280
	s_mov_b64 exec, s[92:93]                                   // 000000004C54: BEFE015C
	buffer_load_dword v192, v1, s[12:15], 0 idxen              // 000000004C58: E0502000 8003C001
	s_mov_b64 exec, s[90:91]                                   // 000000004C60: BEFE015A
	v_mov_b32_e32 v193, 0                                      // 000000004C64: 7F820280
	s_mov_b64 exec, s[92:93]                                   // 000000004C68: BEFE015C
	buffer_load_dword v193, v2, s[12:15], 0 idxen              // 000000004C6C: E0502000 8003C102
	s_mov_b64 exec, s[90:91]                                   // 000000004C74: BEFE015A
	v_mov_b32_e32 v194, 0                                      // 000000004C78: 7F840280
	s_mov_b64 exec, s[92:93]                                   // 000000004C7C: BEFE015C
	buffer_load_dword v194, v3, s[12:15], 0 idxen              // 000000004C80: E0502000 8003C203
	s_mov_b64 exec, s[90:91]                                   // 000000004C88: BEFE015A
	v_mov_b32_e32 v195, 0                                      // 000000004C8C: 7F860280
	s_mov_b64 exec, s[92:93]                                   // 000000004C90: BEFE015C
	buffer_load_dword v195, v4, s[12:15], 0 idxen              // 000000004C94: E0502000 8003C304
	s_mov_b64 exec, s[90:91]                                   // 000000004C9C: BEFE015A
	s_mul_i32 s60, 16, s7                                      // 000000004CA0: 923C0790
	s_cmp_lt_i32 2, s72                                        // 000000004CA4: BF044882
	s_cselect_b32 s60, s60, 0                                  // 000000004CA8: 853C803C
	s_add_u32 s12, s60, s12                                    // 000000004CAC: 800C0C3C
	s_addc_u32 s13, 0, s13                                     // 000000004CB0: 820D0D80
	v_mov_b32_e32 v196, 0                                      // 000000004CB4: 7F880280
	s_mov_b64 exec, s[92:93]                                   // 000000004CB8: BEFE015C
	buffer_load_dword v196, v1, s[12:15], 0 idxen              // 000000004CBC: E0502000 8003C401
	s_mov_b64 exec, s[90:91]                                   // 000000004CC4: BEFE015A
	v_mov_b32_e32 v197, 0                                      // 000000004CC8: 7F8A0280
	s_mov_b64 exec, s[92:93]                                   // 000000004CCC: BEFE015C
	buffer_load_dword v197, v2, s[12:15], 0 idxen              // 000000004CD0: E0502000 8003C502
	s_mov_b64 exec, s[90:91]                                   // 000000004CD8: BEFE015A
	v_mov_b32_e32 v198, 0                                      // 000000004CDC: 7F8C0280
	s_mov_b64 exec, s[92:93]                                   // 000000004CE0: BEFE015C
	buffer_load_dword v198, v3, s[12:15], 0 idxen              // 000000004CE4: E0502000 8003C603
	s_mov_b64 exec, s[90:91]                                   // 000000004CEC: BEFE015A
	v_mov_b32_e32 v199, 0                                      // 000000004CF0: 7F8E0280
	s_mov_b64 exec, s[92:93]                                   // 000000004CF4: BEFE015C
	buffer_load_dword v199, v4, s[12:15], 0 idxen              // 000000004CF8: E0502000 8003C704
	s_mov_b64 exec, s[90:91]                                   // 000000004D00: BEFE015A
	s_mul_i32 s60, 16, s7                                      // 000000004D04: 923C0790
	s_cmp_lt_i32 3, s72                                        // 000000004D08: BF044883
	s_cselect_b32 s60, s60, 0                                  // 000000004D0C: 853C803C
	s_add_u32 s12, s60, s12                                    // 000000004D10: 800C0C3C
	s_addc_u32 s13, 0, s13                                     // 000000004D14: 820D0D80
	s_waitcnt vmcnt(32) lgkmcnt(0)                             // 000000004D18: BF8C8070
	s_barrier                                                  // 000000004D1C: BF8A0000
	s_cmp_lt_i32 0, s72                                        // 000000004D20: BF044880
	s_cbranch_scc1 label_03DA                                  // 000000004D24: BF850010
	v_mov_b32_e32 v152, 0                                      // 000000004D28: 7F300280
	v_mov_b32_e32 v153, 0                                      // 000000004D2C: 7F320280
	v_mov_b32_e32 v154, 0                                      // 000000004D30: 7F340280
	v_mov_b32_e32 v155, 0                                      // 000000004D34: 7F360280
	v_mov_b32_e32 v156, 0                                      // 000000004D38: 7F380280
	v_mov_b32_e32 v157, 0                                      // 000000004D3C: 7F3A0280
	v_mov_b32_e32 v158, 0                                      // 000000004D40: 7F3C0280
	v_mov_b32_e32 v159, 0                                      // 000000004D44: 7F3E0280
	v_mov_b32_e32 v160, 0                                      // 000000004D48: 7F400280
	v_mov_b32_e32 v161, 0                                      // 000000004D4C: 7F420280
	v_mov_b32_e32 v162, 0                                      // 000000004D50: 7F440280
	v_mov_b32_e32 v163, 0                                      // 000000004D54: 7F460280
	v_mov_b32_e32 v164, 0                                      // 000000004D58: 7F480280
	v_mov_b32_e32 v165, 0                                      // 000000004D5C: 7F4A0280
	v_mov_b32_e32 v166, 0                                      // 000000004D60: 7F4C0280
	v_mov_b32_e32 v167, 0                                      // 000000004D64: 7F4E0280

0000000000004d68 <label_03DA>:
	v_perm_b32 v200, v153, v152, s63                           // 000000004D68: D1ED00C8 00FF3199
	v_perm_b32 v201, v153, v152, s64                           // 000000004D70: D1ED00C9 01033199
	v_perm_b32 v202, v155, v154, s63                           // 000000004D78: D1ED00CA 00FF359B
	v_perm_b32 v203, v155, v154, s64                           // 000000004D80: D1ED00CB 0103359B
	v_perm_b32 v204, v157, v156, s63                           // 000000004D88: D1ED00CC 00FF399D
	v_perm_b32 v205, v157, v156, s64                           // 000000004D90: D1ED00CD 0103399D
	v_perm_b32 v206, v159, v158, s63                           // 000000004D98: D1ED00CE 00FF3D9F
	v_perm_b32 v207, v159, v158, s64                           // 000000004DA0: D1ED00CF 01033D9F
	v_perm_b32 v208, v161, v160, s63                           // 000000004DA8: D1ED00D0 00FF41A1
	v_perm_b32 v209, v161, v160, s64                           // 000000004DB0: D1ED00D1 010341A1
	v_perm_b32 v210, v163, v162, s63                           // 000000004DB8: D1ED00D2 00FF45A3
	v_perm_b32 v211, v163, v162, s64                           // 000000004DC0: D1ED00D3 010345A3
	v_perm_b32 v212, v165, v164, s63                           // 000000004DC8: D1ED00D4 00FF49A5
	v_perm_b32 v213, v165, v164, s64                           // 000000004DD0: D1ED00D5 010349A5
	v_perm_b32 v214, v167, v166, s63                           // 000000004DD8: D1ED00D6 00FF4DA7
	v_perm_b32 v215, v167, v166, s64                           // 000000004DE0: D1ED00D7 01034DA7
	ds_write_b32 v13, v200 offset:17408                        // 000000004DE8: D81A4400 0000C80D
	ds_write_b32 v13, v201 offset:18464                        // 000000004DF0: D81A4820 0000C90D
	ds_write_b32 v13, v202 offset:17536                        // 000000004DF8: D81A4480 0000CA0D
	ds_write_b32 v13, v203 offset:18592                        // 000000004E00: D81A48A0 0000CB0D
	ds_write_b32 v13, v204 offset:21760                        // 000000004E08: D81A5500 0000CC0D
	ds_write_b32 v13, v205 offset:22816                        // 000000004E10: D81A5920 0000CD0D
	ds_write_b32 v13, v206 offset:21888                        // 000000004E18: D81A5580 0000CE0D
	ds_write_b32 v13, v207 offset:22944                        // 000000004E20: D81A59A0 0000CF0D
	ds_write_b32 v13, v208 offset:26112                        // 000000004E28: D81A6600 0000D00D
	ds_write_b32 v13, v209 offset:27168                        // 000000004E30: D81A6A20 0000D10D
	ds_write_b32 v13, v210 offset:26240                        // 000000004E38: D81A6680 0000D20D
	ds_write_b32 v13, v211 offset:27296                        // 000000004E40: D81A6AA0 0000D30D
	ds_write_b32 v13, v212 offset:30464                        // 000000004E48: D81A7700 0000D40D
	ds_write_b32 v13, v213 offset:31520                        // 000000004E50: D81A7B20 0000D50D
	ds_write_b32 v13, v214 offset:30592                        // 000000004E58: D81A7780 0000D60D
	ds_write_b32 v13, v215 offset:31648                        // 000000004E60: D81A7BA0 0000D70D
	ds_write_b32 v11, v152                                     // 000000004E68: D81A0000 0000980B
	ds_write_b32 v11, v153 offset:1056                         // 000000004E70: D81A0420 0000990B
	ds_write_b32 v11, v154 offset:128                          // 000000004E78: D81A0080 00009A0B
	ds_write_b32 v11, v155 offset:1184                         // 000000004E80: D81A04A0 00009B0B
	ds_write_b32 v11, v156 offset:4352                         // 000000004E88: D81A1100 00009C0B
	ds_write_b32 v11, v157 offset:5408                         // 000000004E90: D81A1520 00009D0B
	ds_write_b32 v11, v158 offset:4480                         // 000000004E98: D81A1180 00009E0B
	ds_write_b32 v11, v159 offset:5536                         // 000000004EA0: D81A15A0 00009F0B
	ds_write_b32 v11, v160 offset:8704                         // 000000004EA8: D81A2200 0000A00B
	ds_write_b32 v11, v161 offset:9760                         // 000000004EB0: D81A2620 0000A10B
	ds_write_b32 v11, v162 offset:8832                         // 000000004EB8: D81A2280 0000A20B
	ds_write_b32 v11, v163 offset:9888                         // 000000004EC0: D81A26A0 0000A30B
	ds_write_b32 v11, v164 offset:13056                        // 000000004EC8: D81A3300 0000A40B
	ds_write_b32 v11, v165 offset:14112                        // 000000004ED0: D81A3720 0000A50B
	ds_write_b32 v11, v166 offset:13184                        // 000000004ED8: D81A3380 0000A60B
	ds_write_b32 v11, v167 offset:14240                        // 000000004EE0: D81A37A0 0000A70B
	v_mov_b32_e32 v152, 0                                      // 000000004EE8: 7F300280
	s_mov_b64 exec, s[92:93]                                   // 000000004EEC: BEFE015C
	buffer_load_dword v152, v1, s[16:19], 0 idxen              // 000000004EF0: E0502000 80049801
	s_mov_b64 exec, s[90:91]                                   // 000000004EF8: BEFE015A
	v_mov_b32_e32 v153, 0                                      // 000000004EFC: 7F320280
	s_mov_b64 exec, s[92:93]                                   // 000000004F00: BEFE015C
	buffer_load_dword v153, v2, s[16:19], 0 idxen              // 000000004F04: E0502000 80049902
	s_mov_b64 exec, s[90:91]                                   // 000000004F0C: BEFE015A
	v_mov_b32_e32 v154, 0                                      // 000000004F10: 7F340280
	s_mov_b64 exec, s[92:93]                                   // 000000004F14: BEFE015C
	buffer_load_dword v154, v3, s[16:19], 0 idxen              // 000000004F18: E0502000 80049A03
	s_mov_b64 exec, s[90:91]                                   // 000000004F20: BEFE015A
	v_mov_b32_e32 v155, 0                                      // 000000004F24: 7F360280
	s_mov_b64 exec, s[92:93]                                   // 000000004F28: BEFE015C
	buffer_load_dword v155, v4, s[16:19], 0 idxen              // 000000004F2C: E0502000 80049B04
	s_mov_b64 exec, s[90:91]                                   // 000000004F34: BEFE015A
	s_mul_i32 s60, 16, s7                                      // 000000004F38: 923C0790
	s_cmp_lt_i32 0, s72                                        // 000000004F3C: BF044880
	s_cselect_b32 s60, s60, 0                                  // 000000004F40: 853C803C
	s_add_u32 s16, s60, s16                                    // 000000004F44: 8010103C
	s_addc_u32 s17, 0, s17                                     // 000000004F48: 82111180
	v_mov_b32_e32 v156, 0                                      // 000000004F4C: 7F380280
	s_mov_b64 exec, s[92:93]                                   // 000000004F50: BEFE015C
	buffer_load_dword v156, v1, s[16:19], 0 idxen              // 000000004F54: E0502000 80049C01
	s_mov_b64 exec, s[90:91]                                   // 000000004F5C: BEFE015A
	v_mov_b32_e32 v157, 0                                      // 000000004F60: 7F3A0280
	s_mov_b64 exec, s[92:93]                                   // 000000004F64: BEFE015C
	buffer_load_dword v157, v2, s[16:19], 0 idxen              // 000000004F68: E0502000 80049D02
	s_mov_b64 exec, s[90:91]                                   // 000000004F70: BEFE015A
	v_mov_b32_e32 v158, 0                                      // 000000004F74: 7F3C0280
	s_mov_b64 exec, s[92:93]                                   // 000000004F78: BEFE015C
	buffer_load_dword v158, v3, s[16:19], 0 idxen              // 000000004F7C: E0502000 80049E03
	s_mov_b64 exec, s[90:91]                                   // 000000004F84: BEFE015A
	v_mov_b32_e32 v159, 0                                      // 000000004F88: 7F3E0280
	s_mov_b64 exec, s[92:93]                                   // 000000004F8C: BEFE015C
	buffer_load_dword v159, v4, s[16:19], 0 idxen              // 000000004F90: E0502000 80049F04
	s_mov_b64 exec, s[90:91]                                   // 000000004F98: BEFE015A
	s_mul_i32 s60, 16, s7                                      // 000000004F9C: 923C0790
	s_cmp_lt_i32 0, s72                                        // 000000004FA0: BF044880
	s_cselect_b32 s60, s60, 0                                  // 000000004FA4: 853C803C
	s_add_u32 s16, s60, s16                                    // 000000004FA8: 8010103C
	s_addc_u32 s17, 0, s17                                     // 000000004FAC: 82111180
	v_mov_b32_e32 v160, 0                                      // 000000004FB0: 7F400280
	s_mov_b64 exec, s[92:93]                                   // 000000004FB4: BEFE015C
	buffer_load_dword v160, v1, s[16:19], 0 idxen              // 000000004FB8: E0502000 8004A001
	s_mov_b64 exec, s[90:91]                                   // 000000004FC0: BEFE015A
	v_mov_b32_e32 v161, 0                                      // 000000004FC4: 7F420280
	s_mov_b64 exec, s[92:93]                                   // 000000004FC8: BEFE015C
	buffer_load_dword v161, v2, s[16:19], 0 idxen              // 000000004FCC: E0502000 8004A102
	s_mov_b64 exec, s[90:91]                                   // 000000004FD4: BEFE015A
	v_mov_b32_e32 v162, 0                                      // 000000004FD8: 7F440280
	s_mov_b64 exec, s[92:93]                                   // 000000004FDC: BEFE015C
	buffer_load_dword v162, v3, s[16:19], 0 idxen              // 000000004FE0: E0502000 8004A203
	s_mov_b64 exec, s[90:91]                                   // 000000004FE8: BEFE015A
	v_mov_b32_e32 v163, 0                                      // 000000004FEC: 7F460280
	s_mov_b64 exec, s[92:93]                                   // 000000004FF0: BEFE015C
	buffer_load_dword v163, v4, s[16:19], 0 idxen              // 000000004FF4: E0502000 8004A304
	s_mov_b64 exec, s[90:91]                                   // 000000004FFC: BEFE015A
	s_mul_i32 s60, 16, s7                                      // 000000005000: 923C0790
	s_cmp_lt_i32 0, s72                                        // 000000005004: BF044880
	s_cselect_b32 s60, s60, 0                                  // 000000005008: 853C803C
	s_add_u32 s16, s60, s16                                    // 00000000500C: 8010103C
	s_addc_u32 s17, 0, s17                                     // 000000005010: 82111180
	v_mov_b32_e32 v164, 0                                      // 000000005014: 7F480280
	s_mov_b64 exec, s[92:93]                                   // 000000005018: BEFE015C
	buffer_load_dword v164, v1, s[16:19], 0 idxen              // 00000000501C: E0502000 8004A401
	s_mov_b64 exec, s[90:91]                                   // 000000005024: BEFE015A
	v_mov_b32_e32 v165, 0                                      // 000000005028: 7F4A0280
	s_mov_b64 exec, s[92:93]                                   // 00000000502C: BEFE015C
	buffer_load_dword v165, v2, s[16:19], 0 idxen              // 000000005030: E0502000 8004A502
	s_mov_b64 exec, s[90:91]                                   // 000000005038: BEFE015A
	v_mov_b32_e32 v166, 0                                      // 00000000503C: 7F4C0280
	s_mov_b64 exec, s[92:93]                                   // 000000005040: BEFE015C
	buffer_load_dword v166, v3, s[16:19], 0 idxen              // 000000005044: E0502000 8004A603
	s_mov_b64 exec, s[90:91]                                   // 00000000504C: BEFE015A
	v_mov_b32_e32 v167, 0                                      // 000000005050: 7F4E0280
	s_mov_b64 exec, s[92:93]                                   // 000000005054: BEFE015C
	buffer_load_dword v167, v4, s[16:19], 0 idxen              // 000000005058: E0502000 8004A704
	s_mov_b64 exec, s[90:91]                                   // 000000005060: BEFE015A
	s_mul_i32 s60, 16, s7                                      // 000000005064: 923C0790
	s_cmp_lt_i32 1, s72                                        // 000000005068: BF044881
	s_cselect_b32 s60, s60, 0                                  // 00000000506C: 853C803C
	s_add_u32 s16, s60, s16                                    // 000000005070: 8010103C
	s_addc_u32 s17, 0, s17                                     // 000000005074: 82111180
	s_waitcnt lgkmcnt(0)                                       // 000000005078: BF8CC07F
	s_barrier                                                  // 00000000507C: BF8A0000
	ds_read_b128 a[48:51], v23 offset:17408                    // 000000005080: DBFE4400 30000017
	ds_read_b128 a[52:55], v23 offset:17664                    // 000000005088: DBFE4500 34000017
	ds_read_b128 a[56:59], v23 offset:26112                    // 000000005090: DBFE6600 38000017
	ds_read_b128 a[60:63], v23 offset:26368                    // 000000005098: DBFE6700 3C000017
	ds_read_b128 a[0:3], v22                                   // 0000000050A0: DBFE0000 00000016
	ds_read_b128 a[4:7], v22 offset:512                        // 0000000050A8: DBFE0200 04000016
	ds_read_b128 a[8:11], v22 offset:2176                      // 0000000050B0: DBFE0880 08000016
	ds_read_b128 a[12:15], v22 offset:2688                     // 0000000050B8: DBFE0A80 0C000016
	s_waitcnt vmcnt(32) lgkmcnt(0)                             // 0000000050C0: BF8C8070
	s_barrier                                                  // 0000000050C4: BF8A0000
	s_cmp_lt_i32 1, s72                                        // 0000000050C8: BF044881
	s_cbranch_scc1 label_04C4                                  // 0000000050CC: BF850010
	v_mov_b32_e32 v168, 0                                      // 0000000050D0: 7F500280
	v_mov_b32_e32 v169, 0                                      // 0000000050D4: 7F520280
	v_mov_b32_e32 v170, 0                                      // 0000000050D8: 7F540280
	v_mov_b32_e32 v171, 0                                      // 0000000050DC: 7F560280
	v_mov_b32_e32 v172, 0                                      // 0000000050E0: 7F580280
	v_mov_b32_e32 v173, 0                                      // 0000000050E4: 7F5A0280
	v_mov_b32_e32 v174, 0                                      // 0000000050E8: 7F5C0280
	v_mov_b32_e32 v175, 0                                      // 0000000050EC: 7F5E0280
	v_mov_b32_e32 v176, 0                                      // 0000000050F0: 7F600280
	v_mov_b32_e32 v177, 0                                      // 0000000050F4: 7F620280
	v_mov_b32_e32 v178, 0                                      // 0000000050F8: 7F640280
	v_mov_b32_e32 v179, 0                                      // 0000000050FC: 7F660280
	v_mov_b32_e32 v180, 0                                      // 000000005100: 7F680280
	v_mov_b32_e32 v181, 0                                      // 000000005104: 7F6A0280
	v_mov_b32_e32 v182, 0                                      // 000000005108: 7F6C0280
	v_mov_b32_e32 v183, 0                                      // 00000000510C: 7F6E0280

0000000000005110 <label_04C4>:
	v_perm_b32 v200, v169, v168, s63                           // 000000005110: D1ED00C8 00FF51A9
	v_perm_b32 v201, v169, v168, s64                           // 000000005118: D1ED00C9 010351A9
	v_perm_b32 v202, v171, v170, s63                           // 000000005120: D1ED00CA 00FF55AB
	v_perm_b32 v203, v171, v170, s64                           // 000000005128: D1ED00CB 010355AB
	v_perm_b32 v204, v173, v172, s63                           // 000000005130: D1ED00CC 00FF59AD
	v_perm_b32 v205, v173, v172, s64                           // 000000005138: D1ED00CD 010359AD
	v_perm_b32 v206, v175, v174, s63                           // 000000005140: D1ED00CE 00FF5DAF
	v_perm_b32 v207, v175, v174, s64                           // 000000005148: D1ED00CF 01035DAF
	v_perm_b32 v208, v177, v176, s63                           // 000000005150: D1ED00D0 00FF61B1
	v_perm_b32 v209, v177, v176, s64                           // 000000005158: D1ED00D1 010361B1
	v_perm_b32 v210, v179, v178, s63                           // 000000005160: D1ED00D2 00FF65B3
	v_perm_b32 v211, v179, v178, s64                           // 000000005168: D1ED00D3 010365B3
	v_perm_b32 v212, v181, v180, s63                           // 000000005170: D1ED00D4 00FF69B5
	v_perm_b32 v213, v181, v180, s64                           // 000000005178: D1ED00D5 010369B5
	v_perm_b32 v214, v183, v182, s63                           // 000000005180: D1ED00D6 00FF6DB7
	v_perm_b32 v215, v183, v182, s64                           // 000000005188: D1ED00D7 01036DB7
	ds_write_b32 v13, v200 offset:17408                        // 000000005190: D81A4400 0000C80D
	ds_write_b32 v13, v201 offset:18464                        // 000000005198: D81A4820 0000C90D
	ds_write_b32 v13, v202 offset:17536                        // 0000000051A0: D81A4480 0000CA0D
	ds_write_b32 v13, v203 offset:18592                        // 0000000051A8: D81A48A0 0000CB0D
	ds_write_b32 v13, v204 offset:21760                        // 0000000051B0: D81A5500 0000CC0D
	ds_write_b32 v13, v205 offset:22816                        // 0000000051B8: D81A5920 0000CD0D
	ds_write_b32 v13, v206 offset:21888                        // 0000000051C0: D81A5580 0000CE0D
	ds_write_b32 v13, v207 offset:22944                        // 0000000051C8: D81A59A0 0000CF0D
	ds_write_b32 v13, v208 offset:26112                        // 0000000051D0: D81A6600 0000D00D
	ds_write_b32 v13, v209 offset:27168                        // 0000000051D8: D81A6A20 0000D10D
	ds_write_b32 v13, v210 offset:26240                        // 0000000051E0: D81A6680 0000D20D
	ds_write_b32 v13, v211 offset:27296                        // 0000000051E8: D81A6AA0 0000D30D
	ds_write_b32 v13, v212 offset:30464                        // 0000000051F0: D81A7700 0000D40D
	ds_write_b32 v13, v213 offset:31520                        // 0000000051F8: D81A7B20 0000D50D
	ds_write_b32 v13, v214 offset:30592                        // 000000005200: D81A7780 0000D60D
	ds_write_b32 v13, v215 offset:31648                        // 000000005208: D81A7BA0 0000D70D
	ds_write_b32 v11, v168                                     // 000000005210: D81A0000 0000A80B
	ds_write_b32 v11, v169 offset:1056                         // 000000005218: D81A0420 0000A90B
	ds_write_b32 v11, v170 offset:128                          // 000000005220: D81A0080 0000AA0B
	ds_write_b32 v11, v171 offset:1184                         // 000000005228: D81A04A0 0000AB0B
	ds_write_b32 v11, v172 offset:4352                         // 000000005230: D81A1100 0000AC0B
	ds_write_b32 v11, v173 offset:5408                         // 000000005238: D81A1520 0000AD0B
	ds_write_b32 v11, v174 offset:4480                         // 000000005240: D81A1180 0000AE0B
	ds_write_b32 v11, v175 offset:5536                         // 000000005248: D81A15A0 0000AF0B
	ds_write_b32 v11, v176 offset:8704                         // 000000005250: D81A2200 0000B00B
	ds_write_b32 v11, v177 offset:9760                         // 000000005258: D81A2620 0000B10B
	ds_write_b32 v11, v178 offset:8832                         // 000000005260: D81A2280 0000B20B
	ds_write_b32 v11, v179 offset:9888                         // 000000005268: D81A26A0 0000B30B
	ds_write_b32 v11, v180 offset:13056                        // 000000005270: D81A3300 0000B40B
	ds_write_b32 v11, v181 offset:14112                        // 000000005278: D81A3720 0000B50B
	ds_write_b32 v11, v182 offset:13184                        // 000000005280: D81A3380 0000B60B
	ds_write_b32 v11, v183 offset:14240                        // 000000005288: D81A37A0 0000B70B
	v_mov_b32_e32 v168, 0                                      // 000000005290: 7F500280
	s_mov_b64 exec, s[92:93]                                   // 000000005294: BEFE015C
	buffer_load_dword v168, v1, s[16:19], 0 idxen              // 000000005298: E0502000 8004A801
	s_mov_b64 exec, s[90:91]                                   // 0000000052A0: BEFE015A
	v_mov_b32_e32 v169, 0                                      // 0000000052A4: 7F520280
	s_mov_b64 exec, s[92:93]                                   // 0000000052A8: BEFE015C
	buffer_load_dword v169, v2, s[16:19], 0 idxen              // 0000000052AC: E0502000 8004A902
	s_mov_b64 exec, s[90:91]                                   // 0000000052B4: BEFE015A
	v_mov_b32_e32 v170, 0                                      // 0000000052B8: 7F540280
	s_mov_b64 exec, s[92:93]                                   // 0000000052BC: BEFE015C
	buffer_load_dword v170, v3, s[16:19], 0 idxen              // 0000000052C0: E0502000 8004AA03
	s_mov_b64 exec, s[90:91]                                   // 0000000052C8: BEFE015A
	v_mov_b32_e32 v171, 0                                      // 0000000052CC: 7F560280
	s_mov_b64 exec, s[92:93]                                   // 0000000052D0: BEFE015C
	buffer_load_dword v171, v4, s[16:19], 0 idxen              // 0000000052D4: E0502000 8004AB04
	s_mov_b64 exec, s[90:91]                                   // 0000000052DC: BEFE015A
	s_mul_i32 s60, 16, s7                                      // 0000000052E0: 923C0790
	s_cmp_lt_i32 1, s72                                        // 0000000052E4: BF044881
	s_cselect_b32 s60, s60, 0                                  // 0000000052E8: 853C803C
	s_add_u32 s16, s60, s16                                    // 0000000052EC: 8010103C
	s_addc_u32 s17, 0, s17                                     // 0000000052F0: 82111180
	v_mov_b32_e32 v172, 0                                      // 0000000052F4: 7F580280
	s_mov_b64 exec, s[92:93]                                   // 0000000052F8: BEFE015C
	buffer_load_dword v172, v1, s[16:19], 0 idxen              // 0000000052FC: E0502000 8004AC01
	s_mov_b64 exec, s[90:91]                                   // 000000005304: BEFE015A
	v_mov_b32_e32 v173, 0                                      // 000000005308: 7F5A0280
	s_mov_b64 exec, s[92:93]                                   // 00000000530C: BEFE015C
	buffer_load_dword v173, v2, s[16:19], 0 idxen              // 000000005310: E0502000 8004AD02
	s_mov_b64 exec, s[90:91]                                   // 000000005318: BEFE015A
	v_mov_b32_e32 v174, 0                                      // 00000000531C: 7F5C0280
	s_mov_b64 exec, s[92:93]                                   // 000000005320: BEFE015C
	buffer_load_dword v174, v3, s[16:19], 0 idxen              // 000000005324: E0502000 8004AE03
	s_mov_b64 exec, s[90:91]                                   // 00000000532C: BEFE015A
	v_mov_b32_e32 v175, 0                                      // 000000005330: 7F5E0280
	s_mov_b64 exec, s[92:93]                                   // 000000005334: BEFE015C
	buffer_load_dword v175, v4, s[16:19], 0 idxen              // 000000005338: E0502000 8004AF04
	s_mov_b64 exec, s[90:91]                                   // 000000005340: BEFE015A
	s_mul_i32 s60, 16, s7                                      // 000000005344: 923C0790
	s_cmp_lt_i32 1, s72                                        // 000000005348: BF044881
	s_cselect_b32 s60, s60, 0                                  // 00000000534C: 853C803C
	s_add_u32 s16, s60, s16                                    // 000000005350: 8010103C
	s_addc_u32 s17, 0, s17                                     // 000000005354: 82111180
	v_mov_b32_e32 v176, 0                                      // 000000005358: 7F600280
	s_mov_b64 exec, s[92:93]                                   // 00000000535C: BEFE015C
	buffer_load_dword v176, v1, s[16:19], 0 idxen              // 000000005360: E0502000 8004B001
	s_mov_b64 exec, s[90:91]                                   // 000000005368: BEFE015A
	v_mov_b32_e32 v177, 0                                      // 00000000536C: 7F620280
	s_mov_b64 exec, s[92:93]                                   // 000000005370: BEFE015C
	buffer_load_dword v177, v2, s[16:19], 0 idxen              // 000000005374: E0502000 8004B102
	s_mov_b64 exec, s[90:91]                                   // 00000000537C: BEFE015A
	v_mov_b32_e32 v178, 0                                      // 000000005380: 7F640280
	s_mov_b64 exec, s[92:93]                                   // 000000005384: BEFE015C
	buffer_load_dword v178, v3, s[16:19], 0 idxen              // 000000005388: E0502000 8004B203
	s_mov_b64 exec, s[90:91]                                   // 000000005390: BEFE015A
	v_mov_b32_e32 v179, 0                                      // 000000005394: 7F660280
	s_mov_b64 exec, s[92:93]                                   // 000000005398: BEFE015C
	buffer_load_dword v179, v4, s[16:19], 0 idxen              // 00000000539C: E0502000 8004B304
	s_mov_b64 exec, s[90:91]                                   // 0000000053A4: BEFE015A
	s_mul_i32 s60, 16, s7                                      // 0000000053A8: 923C0790
	s_cmp_lt_i32 1, s72                                        // 0000000053AC: BF044881
	s_cselect_b32 s60, s60, 0                                  // 0000000053B0: 853C803C
	s_add_u32 s16, s60, s16                                    // 0000000053B4: 8010103C
	s_addc_u32 s17, 0, s17                                     // 0000000053B8: 82111180
	v_mov_b32_e32 v180, 0                                      // 0000000053BC: 7F680280
	s_mov_b64 exec, s[92:93]                                   // 0000000053C0: BEFE015C
	buffer_load_dword v180, v1, s[16:19], 0 idxen              // 0000000053C4: E0502000 8004B401
	s_mov_b64 exec, s[90:91]                                   // 0000000053CC: BEFE015A
	v_mov_b32_e32 v181, 0                                      // 0000000053D0: 7F6A0280
	s_mov_b64 exec, s[92:93]                                   // 0000000053D4: BEFE015C
	buffer_load_dword v181, v2, s[16:19], 0 idxen              // 0000000053D8: E0502000 8004B502
	s_mov_b64 exec, s[90:91]                                   // 0000000053E0: BEFE015A
	v_mov_b32_e32 v182, 0                                      // 0000000053E4: 7F6C0280
	s_mov_b64 exec, s[92:93]                                   // 0000000053E8: BEFE015C
	buffer_load_dword v182, v3, s[16:19], 0 idxen              // 0000000053EC: E0502000 8004B603
	s_mov_b64 exec, s[90:91]                                   // 0000000053F4: BEFE015A
	v_mov_b32_e32 v183, 0                                      // 0000000053F8: 7F6E0280
	s_mov_b64 exec, s[92:93]                                   // 0000000053FC: BEFE015C
	buffer_load_dword v183, v4, s[16:19], 0 idxen              // 000000005400: E0502000 8004B704
	s_mov_b64 exec, s[90:91]                                   // 000000005408: BEFE015A
	s_mul_i32 s60, 16, s7                                      // 00000000540C: 923C0790
	s_cmp_lt_i32 2, s72                                        // 000000005410: BF044882
	s_cselect_b32 s60, s60, 0                                  // 000000005414: 853C803C
	s_add_u32 s16, s60, s16                                    // 000000005418: 8010103C
	s_addc_u32 s17, 0, s17                                     // 00000000541C: 82111180
	s_waitcnt lgkmcnt(0)                                       // 000000005420: BF8CC07F
	s_barrier                                                  // 000000005424: BF8A0000
	ds_read_b128 a[64:67], v23 offset:17408                    // 000000005428: DBFE4400 40000017
	ds_read_b128 a[68:71], v23 offset:17664                    // 000000005430: DBFE4500 44000017
	ds_read_b128 a[72:75], v23 offset:26112                    // 000000005438: DBFE6600 48000017
	ds_read_b128 a[76:79], v23 offset:26368                    // 000000005440: DBFE6700 4C000017
	ds_read_b128 a[16:19], v22                                 // 000000005448: DBFE0000 10000016
	ds_read_b128 a[20:23], v22 offset:512                      // 000000005450: DBFE0200 14000016
	ds_read_b128 a[24:27], v22 offset:2176                     // 000000005458: DBFE0880 18000016
	ds_read_b128 a[28:31], v22 offset:2688                     // 000000005460: DBFE0A80 1C000016
	s_waitcnt vmcnt(32) lgkmcnt(0)                             // 000000005468: BF8C8070
	s_barrier                                                  // 00000000546C: BF8A0000
	s_cmp_lt_i32 2, s72                                        // 000000005470: BF044882
	s_cbranch_scc1 label_05AE                                  // 000000005474: BF850010
	v_mov_b32_e32 v184, 0                                      // 000000005478: 7F700280
	v_mov_b32_e32 v185, 0                                      // 00000000547C: 7F720280
	v_mov_b32_e32 v186, 0                                      // 000000005480: 7F740280
	v_mov_b32_e32 v187, 0                                      // 000000005484: 7F760280
	v_mov_b32_e32 v188, 0                                      // 000000005488: 7F780280
	v_mov_b32_e32 v189, 0                                      // 00000000548C: 7F7A0280
	v_mov_b32_e32 v190, 0                                      // 000000005490: 7F7C0280
	v_mov_b32_e32 v191, 0                                      // 000000005494: 7F7E0280
	v_mov_b32_e32 v192, 0                                      // 000000005498: 7F800280
	v_mov_b32_e32 v193, 0                                      // 00000000549C: 7F820280
	v_mov_b32_e32 v194, 0                                      // 0000000054A0: 7F840280
	v_mov_b32_e32 v195, 0                                      // 0000000054A4: 7F860280
	v_mov_b32_e32 v196, 0                                      // 0000000054A8: 7F880280
	v_mov_b32_e32 v197, 0                                      // 0000000054AC: 7F8A0280
	v_mov_b32_e32 v198, 0                                      // 0000000054B0: 7F8C0280
	v_mov_b32_e32 v199, 0                                      // 0000000054B4: 7F8E0280

00000000000054b8 <label_05AE>:
	v_perm_b32 v200, v185, v184, s63                           // 0000000054B8: D1ED00C8 00FF71B9
	v_perm_b32 v201, v185, v184, s64                           // 0000000054C0: D1ED00C9 010371B9
	v_perm_b32 v202, v187, v186, s63                           // 0000000054C8: D1ED00CA 00FF75BB
	v_perm_b32 v203, v187, v186, s64                           // 0000000054D0: D1ED00CB 010375BB
	v_perm_b32 v204, v189, v188, s63                           // 0000000054D8: D1ED00CC 00FF79BD
	v_perm_b32 v205, v189, v188, s64                           // 0000000054E0: D1ED00CD 010379BD
	v_perm_b32 v206, v191, v190, s63                           // 0000000054E8: D1ED00CE 00FF7DBF
	v_perm_b32 v207, v191, v190, s64                           // 0000000054F0: D1ED00CF 01037DBF
	v_perm_b32 v208, v193, v192, s63                           // 0000000054F8: D1ED00D0 00FF81C1
	v_perm_b32 v209, v193, v192, s64                           // 000000005500: D1ED00D1 010381C1
	v_perm_b32 v210, v195, v194, s63                           // 000000005508: D1ED00D2 00FF85C3
	v_perm_b32 v211, v195, v194, s64                           // 000000005510: D1ED00D3 010385C3
	v_perm_b32 v212, v197, v196, s63                           // 000000005518: D1ED00D4 00FF89C5
	v_perm_b32 v213, v197, v196, s64                           // 000000005520: D1ED00D5 010389C5
	v_perm_b32 v214, v199, v198, s63                           // 000000005528: D1ED00D6 00FF8DC7
	v_perm_b32 v215, v199, v198, s64                           // 000000005530: D1ED00D7 01038DC7
	ds_write_b32 v13, v200 offset:17408                        // 000000005538: D81A4400 0000C80D
	ds_write_b32 v13, v201 offset:18464                        // 000000005540: D81A4820 0000C90D
	ds_write_b32 v13, v202 offset:17536                        // 000000005548: D81A4480 0000CA0D
	ds_write_b32 v13, v203 offset:18592                        // 000000005550: D81A48A0 0000CB0D
	ds_write_b32 v13, v204 offset:21760                        // 000000005558: D81A5500 0000CC0D
	ds_write_b32 v13, v205 offset:22816                        // 000000005560: D81A5920 0000CD0D
	ds_write_b32 v13, v206 offset:21888                        // 000000005568: D81A5580 0000CE0D
	ds_write_b32 v13, v207 offset:22944                        // 000000005570: D81A59A0 0000CF0D
	ds_write_b32 v13, v208 offset:26112                        // 000000005578: D81A6600 0000D00D
	ds_write_b32 v13, v209 offset:27168                        // 000000005580: D81A6A20 0000D10D
	ds_write_b32 v13, v210 offset:26240                        // 000000005588: D81A6680 0000D20D
	ds_write_b32 v13, v211 offset:27296                        // 000000005590: D81A6AA0 0000D30D
	ds_write_b32 v13, v212 offset:30464                        // 000000005598: D81A7700 0000D40D
	ds_write_b32 v13, v213 offset:31520                        // 0000000055A0: D81A7B20 0000D50D
	ds_write_b32 v13, v214 offset:30592                        // 0000000055A8: D81A7780 0000D60D
	ds_write_b32 v13, v215 offset:31648                        // 0000000055B0: D81A7BA0 0000D70D
	ds_write_b32 v11, v184                                     // 0000000055B8: D81A0000 0000B80B
	ds_write_b32 v11, v185 offset:1056                         // 0000000055C0: D81A0420 0000B90B
	ds_write_b32 v11, v186 offset:128                          // 0000000055C8: D81A0080 0000BA0B
	ds_write_b32 v11, v187 offset:1184                         // 0000000055D0: D81A04A0 0000BB0B
	ds_write_b32 v11, v188 offset:4352                         // 0000000055D8: D81A1100 0000BC0B
	ds_write_b32 v11, v189 offset:5408                         // 0000000055E0: D81A1520 0000BD0B
	ds_write_b32 v11, v190 offset:4480                         // 0000000055E8: D81A1180 0000BE0B
	ds_write_b32 v11, v191 offset:5536                         // 0000000055F0: D81A15A0 0000BF0B
	ds_write_b32 v11, v192 offset:8704                         // 0000000055F8: D81A2200 0000C00B
	ds_write_b32 v11, v193 offset:9760                         // 000000005600: D81A2620 0000C10B
	ds_write_b32 v11, v194 offset:8832                         // 000000005608: D81A2280 0000C20B
	ds_write_b32 v11, v195 offset:9888                         // 000000005610: D81A26A0 0000C30B
	ds_write_b32 v11, v196 offset:13056                        // 000000005618: D81A3300 0000C40B
	ds_write_b32 v11, v197 offset:14112                        // 000000005620: D81A3720 0000C50B
	ds_write_b32 v11, v198 offset:13184                        // 000000005628: D81A3380 0000C60B
	ds_write_b32 v11, v199 offset:14240                        // 000000005630: D81A37A0 0000C70B
	v_mov_b32_e32 v184, 0                                      // 000000005638: 7F700280
	s_mov_b64 exec, s[92:93]                                   // 00000000563C: BEFE015C
	buffer_load_dword v184, v1, s[16:19], 0 idxen              // 000000005640: E0502000 8004B801
	s_mov_b64 exec, s[90:91]                                   // 000000005648: BEFE015A
	v_mov_b32_e32 v185, 0                                      // 00000000564C: 7F720280
	s_mov_b64 exec, s[92:93]                                   // 000000005650: BEFE015C
	buffer_load_dword v185, v2, s[16:19], 0 idxen              // 000000005654: E0502000 8004B902
	s_mov_b64 exec, s[90:91]                                   // 00000000565C: BEFE015A
	v_mov_b32_e32 v186, 0                                      // 000000005660: 7F740280
	s_mov_b64 exec, s[92:93]                                   // 000000005664: BEFE015C
	buffer_load_dword v186, v3, s[16:19], 0 idxen              // 000000005668: E0502000 8004BA03
	s_mov_b64 exec, s[90:91]                                   // 000000005670: BEFE015A
	v_mov_b32_e32 v187, 0                                      // 000000005674: 7F760280
	s_mov_b64 exec, s[92:93]                                   // 000000005678: BEFE015C
	buffer_load_dword v187, v4, s[16:19], 0 idxen              // 00000000567C: E0502000 8004BB04
	s_mov_b64 exec, s[90:91]                                   // 000000005684: BEFE015A
	s_mul_i32 s60, 16, s7                                      // 000000005688: 923C0790
	s_cmp_lt_i32 2, s72                                        // 00000000568C: BF044882
	s_cselect_b32 s60, s60, 0                                  // 000000005690: 853C803C
	s_add_u32 s16, s60, s16                                    // 000000005694: 8010103C
	s_addc_u32 s17, 0, s17                                     // 000000005698: 82111180
	v_mov_b32_e32 v188, 0                                      // 00000000569C: 7F780280
	s_mov_b64 exec, s[92:93]                                   // 0000000056A0: BEFE015C
	buffer_load_dword v188, v1, s[16:19], 0 idxen              // 0000000056A4: E0502000 8004BC01
	s_mov_b64 exec, s[90:91]                                   // 0000000056AC: BEFE015A
	v_mov_b32_e32 v189, 0                                      // 0000000056B0: 7F7A0280
	s_mov_b64 exec, s[92:93]                                   // 0000000056B4: BEFE015C
	buffer_load_dword v189, v2, s[16:19], 0 idxen              // 0000000056B8: E0502000 8004BD02
	s_mov_b64 exec, s[90:91]                                   // 0000000056C0: BEFE015A
	v_mov_b32_e32 v190, 0                                      // 0000000056C4: 7F7C0280
	s_mov_b64 exec, s[92:93]                                   // 0000000056C8: BEFE015C
	buffer_load_dword v190, v3, s[16:19], 0 idxen              // 0000000056CC: E0502000 8004BE03
	s_mov_b64 exec, s[90:91]                                   // 0000000056D4: BEFE015A
	v_mov_b32_e32 v191, 0                                      // 0000000056D8: 7F7E0280
	s_mov_b64 exec, s[92:93]                                   // 0000000056DC: BEFE015C
	buffer_load_dword v191, v4, s[16:19], 0 idxen              // 0000000056E0: E0502000 8004BF04
	s_mov_b64 exec, s[90:91]                                   // 0000000056E8: BEFE015A
	s_mul_i32 s60, 16, s7                                      // 0000000056EC: 923C0790
	s_cmp_lt_i32 2, s72                                        // 0000000056F0: BF044882
	s_cselect_b32 s60, s60, 0                                  // 0000000056F4: 853C803C
	s_add_u32 s16, s60, s16                                    // 0000000056F8: 8010103C
	s_addc_u32 s17, 0, s17                                     // 0000000056FC: 82111180
	v_mov_b32_e32 v192, 0                                      // 000000005700: 7F800280
	s_mov_b64 exec, s[92:93]                                   // 000000005704: BEFE015C
	buffer_load_dword v192, v1, s[16:19], 0 idxen              // 000000005708: E0502000 8004C001
	s_mov_b64 exec, s[90:91]                                   // 000000005710: BEFE015A
	v_mov_b32_e32 v193, 0                                      // 000000005714: 7F820280
	s_mov_b64 exec, s[92:93]                                   // 000000005718: BEFE015C
	buffer_load_dword v193, v2, s[16:19], 0 idxen              // 00000000571C: E0502000 8004C102
	s_mov_b64 exec, s[90:91]                                   // 000000005724: BEFE015A
	v_mov_b32_e32 v194, 0                                      // 000000005728: 7F840280
	s_mov_b64 exec, s[92:93]                                   // 00000000572C: BEFE015C
	buffer_load_dword v194, v3, s[16:19], 0 idxen              // 000000005730: E0502000 8004C203
	s_mov_b64 exec, s[90:91]                                   // 000000005738: BEFE015A
	v_mov_b32_e32 v195, 0                                      // 00000000573C: 7F860280
	s_mov_b64 exec, s[92:93]                                   // 000000005740: BEFE015C
	buffer_load_dword v195, v4, s[16:19], 0 idxen              // 000000005744: E0502000 8004C304
	s_mov_b64 exec, s[90:91]                                   // 00000000574C: BEFE015A
	s_mul_i32 s60, 16, s7                                      // 000000005750: 923C0790
	s_cmp_lt_i32 2, s72                                        // 000000005754: BF044882
	s_cselect_b32 s60, s60, 0                                  // 000000005758: 853C803C
	s_add_u32 s16, s60, s16                                    // 00000000575C: 8010103C
	s_addc_u32 s17, 0, s17                                     // 000000005760: 82111180
	v_mov_b32_e32 v196, 0                                      // 000000005764: 7F880280
	s_mov_b64 exec, s[92:93]                                   // 000000005768: BEFE015C
	buffer_load_dword v196, v1, s[16:19], 0 idxen              // 00000000576C: E0502000 8004C401
	s_mov_b64 exec, s[90:91]                                   // 000000005774: BEFE015A
	v_mov_b32_e32 v197, 0                                      // 000000005778: 7F8A0280
	s_mov_b64 exec, s[92:93]                                   // 00000000577C: BEFE015C
	buffer_load_dword v197, v2, s[16:19], 0 idxen              // 000000005780: E0502000 8004C502
	s_mov_b64 exec, s[90:91]                                   // 000000005788: BEFE015A
	v_mov_b32_e32 v198, 0                                      // 00000000578C: 7F8C0280
	s_mov_b64 exec, s[92:93]                                   // 000000005790: BEFE015C
	buffer_load_dword v198, v3, s[16:19], 0 idxen              // 000000005794: E0502000 8004C603
	s_mov_b64 exec, s[90:91]                                   // 00000000579C: BEFE015A
	v_mov_b32_e32 v199, 0                                      // 0000000057A0: 7F8E0280
	s_mov_b64 exec, s[92:93]                                   // 0000000057A4: BEFE015C
	buffer_load_dword v199, v4, s[16:19], 0 idxen              // 0000000057A8: E0502000 8004C704
	s_mov_b64 exec, s[90:91]                                   // 0000000057B0: BEFE015A
	s_mul_i32 s60, 16, s7                                      // 0000000057B4: 923C0790
	s_cmp_lt_i32 3, s72                                        // 0000000057B8: BF044883
	s_cselect_b32 s60, s60, 0                                  // 0000000057BC: 853C803C
	s_add_u32 s16, s60, s16                                    // 0000000057C0: 8010103C
	s_addc_u32 s17, 0, s17                                     // 0000000057C4: 82111180
	s_waitcnt lgkmcnt(0)                                       // 0000000057C8: BF8CC07F
	s_barrier                                                  // 0000000057CC: BF8A0000
	ds_read_b128 a[80:83], v23 offset:17408                    // 0000000057D0: DBFE4400 50000017
	ds_read_b128 a[84:87], v23 offset:17664                    // 0000000057D8: DBFE4500 54000017
	ds_read_b128 a[88:91], v23 offset:26112                    // 0000000057E0: DBFE6600 58000017
	ds_read_b128 a[92:95], v23 offset:26368                    // 0000000057E8: DBFE6700 5C000017
	ds_read_b128 a[32:35], v22                                 // 0000000057F0: DBFE0000 20000016
	ds_read_b128 a[36:39], v22 offset:512                      // 0000000057F8: DBFE0200 24000016
	ds_read_b128 a[40:43], v22 offset:2176                     // 000000005800: DBFE0880 28000016
	ds_read_b128 a[44:47], v22 offset:2688                     // 000000005808: DBFE0A80 2C000016
	s_waitcnt vmcnt(32) lgkmcnt(0)                             // 000000005810: BF8C8070
	s_barrier                                                  // 000000005814: BF8A0000
	s_cmp_lt_i32 0, s72                                        // 000000005818: BF044880
	s_cbranch_scc1 label_0698                                  // 00000000581C: BF850010
	v_mov_b32_e32 v152, 0                                      // 000000005820: 7F300280
	v_mov_b32_e32 v153, 0                                      // 000000005824: 7F320280
	v_mov_b32_e32 v154, 0                                      // 000000005828: 7F340280
	v_mov_b32_e32 v155, 0                                      // 00000000582C: 7F360280
	v_mov_b32_e32 v156, 0                                      // 000000005830: 7F380280
	v_mov_b32_e32 v157, 0                                      // 000000005834: 7F3A0280
	v_mov_b32_e32 v158, 0                                      // 000000005838: 7F3C0280
	v_mov_b32_e32 v159, 0                                      // 00000000583C: 7F3E0280
	v_mov_b32_e32 v160, 0                                      // 000000005840: 7F400280
	v_mov_b32_e32 v161, 0                                      // 000000005844: 7F420280
	v_mov_b32_e32 v162, 0                                      // 000000005848: 7F440280
	v_mov_b32_e32 v163, 0                                      // 00000000584C: 7F460280
	v_mov_b32_e32 v164, 0                                      // 000000005850: 7F480280
	v_mov_b32_e32 v165, 0                                      // 000000005854: 7F4A0280
	v_mov_b32_e32 v166, 0                                      // 000000005858: 7F4C0280
	v_mov_b32_e32 v167, 0                                      // 00000000585C: 7F4E0280

0000000000005860 <label_0698>:
	ds_write_b32 v11, v152                                     // 000000005860: D81A0000 0000980B
	ds_write_b32 v11, v153 offset:1056                         // 000000005868: D81A0420 0000990B
	ds_write_b32 v11, v154 offset:128                          // 000000005870: D81A0080 00009A0B
	ds_write_b32 v11, v155 offset:1184                         // 000000005878: D81A04A0 00009B0B
	ds_write_b32 v11, v156 offset:4352                         // 000000005880: D81A1100 00009C0B
	ds_write_b32 v11, v157 offset:5408                         // 000000005888: D81A1520 00009D0B
	ds_write_b32 v11, v158 offset:4480                         // 000000005890: D81A1180 00009E0B
	ds_write_b32 v11, v159 offset:5536                         // 000000005898: D81A15A0 00009F0B
	ds_write_b32 v11, v160 offset:8704                         // 0000000058A0: D81A2200 0000A00B
	ds_write_b32 v11, v161 offset:9760                         // 0000000058A8: D81A2620 0000A10B
	ds_write_b32 v11, v162 offset:8832                         // 0000000058B0: D81A2280 0000A20B
	ds_write_b32 v11, v163 offset:9888                         // 0000000058B8: D81A26A0 0000A30B
	ds_write_b32 v11, v164 offset:13056                        // 0000000058C0: D81A3300 0000A40B
	ds_write_b32 v11, v165 offset:14112                        // 0000000058C8: D81A3720 0000A50B
	ds_write_b32 v11, v166 offset:13184                        // 0000000058D0: D81A3380 0000A60B
	ds_write_b32 v11, v167 offset:14240                        // 0000000058D8: D81A37A0 0000A70B
	s_mov_b32 s71, s70                                         // 0000000058E0: BEC70046
	v_lshrrev_b32_e32 v28, 4, v0                               // 0000000058E4: 20380084
	v_and_b32_e32 v29, 1, v28                                  // 0000000058E8: 263A3881
	v_lshlrev_b32_e32 v29, 1, v29                              // 0000000058EC: 243A3A81
	v_mul_i32_i24_e32 v29, s71, v29                            // 0000000058F0: 0C3A3A47
	v_and_b32_e32 v30, 2, v28                                  // 0000000058F4: 263C3882
	v_lshlrev_b32_e32 v30, 5, v30                              // 0000000058F8: 243C3C85
	v_add_u32_e32 v29, v30, v29                                // 0000000058FC: 683A3B1E
	v_and_b32_e32 v28, 15, v0                                  // 000000005900: 2638008F
	v_lshlrev_b32_e32 v28, 2, v28                              // 000000005904: 24383882
	v_add_u32_e32 v1, v28, v29                                 // 000000005908: 68023B1C
	s_and_b32 s60, 1, s47                                      // 00000000590C: 863C2F81
	s_mul_i32 s60, s60, s71                                    // 000000005910: 923C473C
	s_mul_i32 s60, s60, 8                                      // 000000005914: 923C883C
	s_lshr_b32 s61, s47, 1                                     // 000000005918: 8F3D812F
	s_mul_i32 s61, s61, 0x80                                   // 00000000591C: 923DFF3D 00000080
	s_add_u32 s60, s60, s61                                    // 000000005924: 803C3D3C
	v_add_u32_e32 v1, s60, v1                                  // 000000005928: 6802023C
	v_add_u32_e32 v2, s71, v1                                  // 00000000592C: 68040247
	s_mul_i32 s60, 4, s71                                      // 000000005930: 923C4784
	v_add_u32_e32 v3, s60, v1                                  // 000000005934: 6806023C
	v_add_u32_e32 v4, s60, v2                                  // 000000005938: 6808043C
	v_lshrrev_b32_e32 v1, 2, v1                                // 00000000593C: 20020282
	v_lshrrev_b32_e32 v2, 2, v2                                // 000000005940: 20040482
	v_lshrrev_b32_e32 v3, 2, v3                                // 000000005944: 20060682
	;; [unrolled: 1-line block ×3, first 2 shown]
	v_mov_b32_e32 v32, 0                                       // 00000000594C: 7E400280
	s_mov_b64 exec, s[92:93]                                   // 000000005950: BEFE015C
	buffer_load_dword v32, v1, s[8:11], 0 idxen                // 000000005954: E0502000 80022001
	s_mov_b64 exec, s[90:91]                                   // 00000000595C: BEFE015A
	v_mov_b32_e32 v33, 0                                       // 000000005960: 7E420280
	s_mov_b64 exec, s[92:93]                                   // 000000005964: BEFE015C
	buffer_load_dword v33, v2, s[8:11], 0 idxen                // 000000005968: E0502000 80022102
	s_mov_b64 exec, s[90:91]                                   // 000000005970: BEFE015A
	v_mov_b32_e32 v34, 0                                       // 000000005974: 7E440280
	s_mov_b64 exec, s[92:93]                                   // 000000005978: BEFE015C
	buffer_load_dword v34, v3, s[8:11], 0 idxen                // 00000000597C: E0502000 80022203
	s_mov_b64 exec, s[90:91]                                   // 000000005984: BEFE015A
	v_mov_b32_e32 v35, 0                                       // 000000005988: 7E460280
	s_mov_b64 exec, s[92:93]                                   // 00000000598C: BEFE015C
	buffer_load_dword v35, v4, s[8:11], 0 idxen                // 000000005990: E0502000 80022304
	s_mov_b64 exec, s[90:91]                                   // 000000005998: BEFE015A
	v_mov_b32_e32 v40, 0                                       // 00000000599C: 7E500280
	s_mov_b64 exec, s[92:93]                                   // 0000000059A0: BEFE015C
	buffer_load_dword v40, v1, s[20:23], 0 idxen               // 0000000059A4: E0502000 80052801
	s_mov_b64 exec, s[90:91]                                   // 0000000059AC: BEFE015A
	v_mov_b32_e32 v41, 0                                       // 0000000059B0: 7E520280
	s_mov_b64 exec, s[92:93]                                   // 0000000059B4: BEFE015C
	buffer_load_dword v41, v2, s[20:23], 0 idxen               // 0000000059B8: E0502000 80052902
	s_mov_b64 exec, s[90:91]                                   // 0000000059C0: BEFE015A
	v_mov_b32_e32 v42, 0                                       // 0000000059C4: 7E540280
	s_mov_b64 exec, s[92:93]                                   // 0000000059C8: BEFE015C
	buffer_load_dword v42, v3, s[20:23], 0 idxen               // 0000000059CC: E0502000 80052A03
	s_mov_b64 exec, s[90:91]                                   // 0000000059D4: BEFE015A
	v_mov_b32_e32 v43, 0                                       // 0000000059D8: 7E560280
	s_mov_b64 exec, s[92:93]                                   // 0000000059DC: BEFE015C
	buffer_load_dword v43, v4, s[20:23], 0 idxen               // 0000000059E0: E0502000 80052B04
	s_mov_b64 exec, s[90:91]                                   // 0000000059E8: BEFE015A
	s_waitcnt lgkmcnt(0)                                       // 0000000059EC: BF8CC07F
	s_barrier                                                  // 0000000059F0: BF8A0000
	ds_read_b128 a[96:99], v22                                 // 0000000059F4: DBFE0000 60000016
	ds_read_b128 a[100:103], v22 offset:512                    // 0000000059FC: DBFE0200 64000016
	ds_read_b128 a[104:107], v22 offset:2176                   // 000000005A04: DBFE0880 68000016
	ds_read_b128 a[108:111], v22 offset:2688                   // 000000005A0C: DBFE0A80 6C000016
	s_add_u32 s8, s68, s8                                      // 000000005A14: 80080844
	s_addc_u32 s9, 0, s9                                       // 000000005A18: 82090980
	s_add_u32 s20, s68, s20                                    // 000000005A1C: 80141444
	s_addc_u32 s21, 0, s21                                     // 000000005A20: 82151580
	s_waitcnt vmcnt(24) lgkmcnt(0)                             // 000000005A24: BF8C4078
	s_barrier                                                  // 000000005A28: BF8A0000
	s_cmp_lt_i32 1, s72                                        // 000000005A2C: BF044881
	s_cbranch_scc1 label_071D                                  // 000000005A30: BF850010
	v_mov_b32_e32 v168, 0                                      // 000000005A34: 7F500280
	v_mov_b32_e32 v169, 0                                      // 000000005A38: 7F520280
	v_mov_b32_e32 v170, 0                                      // 000000005A3C: 7F540280
	v_mov_b32_e32 v171, 0                                      // 000000005A40: 7F560280
	v_mov_b32_e32 v172, 0                                      // 000000005A44: 7F580280
	v_mov_b32_e32 v173, 0                                      // 000000005A48: 7F5A0280
	v_mov_b32_e32 v174, 0                                      // 000000005A4C: 7F5C0280
	v_mov_b32_e32 v175, 0                                      // 000000005A50: 7F5E0280
	v_mov_b32_e32 v176, 0                                      // 000000005A54: 7F600280
	v_mov_b32_e32 v177, 0                                      // 000000005A58: 7F620280
	v_mov_b32_e32 v178, 0                                      // 000000005A5C: 7F640280
	v_mov_b32_e32 v179, 0                                      // 000000005A60: 7F660280
	v_mov_b32_e32 v180, 0                                      // 000000005A64: 7F680280
	v_mov_b32_e32 v181, 0                                      // 000000005A68: 7F6A0280
	v_mov_b32_e32 v182, 0                                      // 000000005A6C: 7F6C0280
	v_mov_b32_e32 v183, 0                                      // 000000005A70: 7F6E0280

0000000000005a74 <label_071D>:
	ds_write_b32 v11, v168                                     // 000000005A74: D81A0000 0000A80B
	ds_write_b32 v11, v169 offset:1056                         // 000000005A7C: D81A0420 0000A90B
	ds_write_b32 v11, v170 offset:128                          // 000000005A84: D81A0080 0000AA0B
	ds_write_b32 v11, v171 offset:1184                         // 000000005A8C: D81A04A0 0000AB0B
	ds_write_b32 v11, v172 offset:4352                         // 000000005A94: D81A1100 0000AC0B
	ds_write_b32 v11, v173 offset:5408                         // 000000005A9C: D81A1520 0000AD0B
	ds_write_b32 v11, v174 offset:4480                         // 000000005AA4: D81A1180 0000AE0B
	ds_write_b32 v11, v175 offset:5536                         // 000000005AAC: D81A15A0 0000AF0B
	ds_write_b32 v11, v176 offset:8704                         // 000000005AB4: D81A2200 0000B00B
	ds_write_b32 v11, v177 offset:9760                         // 000000005ABC: D81A2620 0000B10B
	ds_write_b32 v11, v178 offset:8832                         // 000000005AC4: D81A2280 0000B20B
	ds_write_b32 v11, v179 offset:9888                         // 000000005ACC: D81A26A0 0000B30B
	ds_write_b32 v11, v180 offset:13056                        // 000000005AD4: D81A3300 0000B40B
	ds_write_b32 v11, v181 offset:14112                        // 000000005ADC: D81A3720 0000B50B
	ds_write_b32 v11, v182 offset:13184                        // 000000005AE4: D81A3380 0000B60B
	ds_write_b32 v11, v183 offset:14240                        // 000000005AEC: D81A37A0 0000B70B
	v_mov_b32_e32 v36, 0                                       // 000000005AF4: 7E480280
	s_mov_b64 exec, s[92:93]                                   // 000000005AF8: BEFE015C
	buffer_load_dword v36, v1, s[8:11], 0 idxen                // 000000005AFC: E0502000 80022401
	s_mov_b64 exec, s[90:91]                                   // 000000005B04: BEFE015A
	v_mov_b32_e32 v37, 0                                       // 000000005B08: 7E4A0280
	s_mov_b64 exec, s[92:93]                                   // 000000005B0C: BEFE015C
	buffer_load_dword v37, v2, s[8:11], 0 idxen                // 000000005B10: E0502000 80022502
	s_mov_b64 exec, s[90:91]                                   // 000000005B18: BEFE015A
	v_mov_b32_e32 v38, 0                                       // 000000005B1C: 7E4C0280
	s_mov_b64 exec, s[92:93]                                   // 000000005B20: BEFE015C
	buffer_load_dword v38, v3, s[8:11], 0 idxen                // 000000005B24: E0502000 80022603
	s_mov_b64 exec, s[90:91]                                   // 000000005B2C: BEFE015A
	v_mov_b32_e32 v39, 0                                       // 000000005B30: 7E4E0280
	s_mov_b64 exec, s[92:93]                                   // 000000005B34: BEFE015C
	buffer_load_dword v39, v4, s[8:11], 0 idxen                // 000000005B38: E0502000 80022704
	s_mov_b64 exec, s[90:91]                                   // 000000005B40: BEFE015A
	v_mov_b32_e32 v44, 0                                       // 000000005B44: 7E580280
	s_mov_b64 exec, s[92:93]                                   // 000000005B48: BEFE015C
	buffer_load_dword v44, v1, s[20:23], 0 idxen               // 000000005B4C: E0502000 80052C01
	s_mov_b64 exec, s[90:91]                                   // 000000005B54: BEFE015A
	v_mov_b32_e32 v45, 0                                       // 000000005B58: 7E5A0280
	s_mov_b64 exec, s[92:93]                                   // 000000005B5C: BEFE015C
	buffer_load_dword v45, v2, s[20:23], 0 idxen               // 000000005B60: E0502000 80052D02
	s_mov_b64 exec, s[90:91]                                   // 000000005B68: BEFE015A
	v_mov_b32_e32 v46, 0                                       // 000000005B6C: 7E5C0280
	s_mov_b64 exec, s[92:93]                                   // 000000005B70: BEFE015C
	buffer_load_dword v46, v3, s[20:23], 0 idxen               // 000000005B74: E0502000 80052E03
	s_mov_b64 exec, s[90:91]                                   // 000000005B7C: BEFE015A
	v_mov_b32_e32 v47, 0                                       // 000000005B80: 7E5E0280
	s_mov_b64 exec, s[92:93]                                   // 000000005B84: BEFE015C
	buffer_load_dword v47, v4, s[20:23], 0 idxen               // 000000005B88: E0502000 80052F04
	s_mov_b64 exec, s[90:91]                                   // 000000005B90: BEFE015A
	s_waitcnt lgkmcnt(0)                                       // 000000005B94: BF8CC07F
	s_barrier                                                  // 000000005B98: BF8A0000
	ds_read_b128 a[112:115], v22                               // 000000005B9C: DBFE0000 70000016
	ds_read_b128 a[116:119], v22 offset:512                    // 000000005BA4: DBFE0200 74000016
	ds_read_b128 a[120:123], v22 offset:2176                   // 000000005BAC: DBFE0880 78000016
	ds_read_b128 a[124:127], v22 offset:2688                   // 000000005BB4: DBFE0A80 7C000016
	s_add_u32 s8, s68, s8                                      // 000000005BBC: 80080844
	s_addc_u32 s9, 0, s9                                       // 000000005BC0: 82090980
	s_add_u32 s20, s68, s20                                    // 000000005BC4: 80141444
	s_addc_u32 s21, 0, s21                                     // 000000005BC8: 82151580
	s_waitcnt vmcnt(16) lgkmcnt(0)                             // 000000005BCC: BF8C4070
	s_barrier                                                  // 000000005BD0: BF8A0000
	s_cmp_lt_i32 2, s72                                        // 000000005BD4: BF044882
	s_cbranch_scc1 label_0787                                  // 000000005BD8: BF850010
	v_mov_b32_e32 v184, 0                                      // 000000005BDC: 7F700280
	v_mov_b32_e32 v185, 0                                      // 000000005BE0: 7F720280
	v_mov_b32_e32 v186, 0                                      // 000000005BE4: 7F740280
	v_mov_b32_e32 v187, 0                                      // 000000005BE8: 7F760280
	v_mov_b32_e32 v188, 0                                      // 000000005BEC: 7F780280
	v_mov_b32_e32 v189, 0                                      // 000000005BF0: 7F7A0280
	v_mov_b32_e32 v190, 0                                      // 000000005BF4: 7F7C0280
	v_mov_b32_e32 v191, 0                                      // 000000005BF8: 7F7E0280
	v_mov_b32_e32 v192, 0                                      // 000000005BFC: 7F800280
	v_mov_b32_e32 v193, 0                                      // 000000005C00: 7F820280
	v_mov_b32_e32 v194, 0                                      // 000000005C04: 7F840280
	v_mov_b32_e32 v195, 0                                      // 000000005C08: 7F860280
	v_mov_b32_e32 v196, 0                                      // 000000005C0C: 7F880280
	v_mov_b32_e32 v197, 0                                      // 000000005C10: 7F8A0280
	v_mov_b32_e32 v198, 0                                      // 000000005C14: 7F8C0280
	v_mov_b32_e32 v199, 0                                      // 000000005C18: 7F8E0280

0000000000005c1c <label_0787>:
	ds_write_b32 v11, v184                                     // 000000005C1C: D81A0000 0000B80B
	ds_write_b32 v11, v185 offset:1056                         // 000000005C24: D81A0420 0000B90B
	ds_write_b32 v11, v186 offset:128                          // 000000005C2C: D81A0080 0000BA0B
	ds_write_b32 v11, v187 offset:1184                         // 000000005C34: D81A04A0 0000BB0B
	ds_write_b32 v11, v188 offset:4352                         // 000000005C3C: D81A1100 0000BC0B
	ds_write_b32 v11, v189 offset:5408                         // 000000005C44: D81A1520 0000BD0B
	ds_write_b32 v11, v190 offset:4480                         // 000000005C4C: D81A1180 0000BE0B
	ds_write_b32 v11, v191 offset:5536                         // 000000005C54: D81A15A0 0000BF0B
	ds_write_b32 v11, v192 offset:8704                         // 000000005C5C: D81A2200 0000C00B
	ds_write_b32 v11, v193 offset:9760                         // 000000005C64: D81A2620 0000C10B
	ds_write_b32 v11, v194 offset:8832                         // 000000005C6C: D81A2280 0000C20B
	ds_write_b32 v11, v195 offset:9888                         // 000000005C74: D81A26A0 0000C30B
	ds_write_b32 v11, v196 offset:13056                        // 000000005C7C: D81A3300 0000C40B
	ds_write_b32 v11, v197 offset:14112                        // 000000005C84: D81A3720 0000C50B
	ds_write_b32 v11, v198 offset:13184                        // 000000005C8C: D81A3380 0000C60B
	ds_write_b32 v11, v199 offset:14240                        // 000000005C94: D81A37A0 0000C70B
	s_waitcnt lgkmcnt(0)                                       // 000000005C9C: BF8CC07F
	s_barrier                                                  // 000000005CA0: BF8A0000
	ds_read_b128 a[128:131], v22                               // 000000005CA4: DBFE0000 80000016
	ds_read_b128 a[132:135], v22 offset:512                    // 000000005CAC: DBFE0200 84000016
	ds_read_b128 a[136:139], v22 offset:2176                   // 000000005CB4: DBFE0880 88000016
	ds_read_b128 a[140:143], v22 offset:2688                   // 000000005CBC: DBFE0A80 8C000016
	s_waitcnt vmcnt(8) lgkmcnt(0)                              // 000000005CC4: BF8C0078
	s_barrier                                                  // 000000005CC8: BF8A0000
	buffer_load_dword v9, s[24:27], 0 idxen lds                // 000000005CCC: E0512000 80060009
	s_mov_b32 m0, s79                                          // 000000005CD4: BEFC004F
	v_add_u32_e32 v9, s69, v9                                  // 000000005CD8: 68121245
	v_perm_b32 v84, v33, v32, s63                              // 000000005CDC: D1ED0054 00FE4121
	v_perm_b32 v85, v33, v32, s64                              // 000000005CE4: D1ED0055 01024121
	v_perm_b32 v86, v35, v34, s63                              // 000000005CEC: D1ED0056 00FE4523
	v_perm_b32 v87, v35, v34, s64                              // 000000005CF4: D1ED0057 01024523
	ds_write_b32 v13, v84 offset:4352                          // 000000005CFC: D81A1100 0000540D
	ds_write_b32 v13, v85 offset:5408                          // 000000005D04: D81A1520 0000550D
	ds_write_b32 v13, v86 offset:4480                          // 000000005D0C: D81A1180 0000560D
	ds_write_b32 v13, v87 offset:5536                          // 000000005D14: D81A15A0 0000570D
	ds_write_b32 v11, v32                                      // 000000005D1C: D81A0000 0000200B
	ds_write_b32 v11, v33 offset:1056                          // 000000005D24: D81A0420 0000210B
	ds_write_b32 v11, v34 offset:128                           // 000000005D2C: D81A0080 0000220B
	ds_write_b32 v11, v35 offset:1184                          // 000000005D34: D81A04A0 0000230B
	buffer_load_dword v9, s[24:27], 0 idxen lds                // 000000005D3C: E0512000 80060009
	s_mov_b32 m0, s78                                          // 000000005D44: BEFC004E
	v_add_u32_e32 v9, s69, v9                                  // 000000005D48: 68121245
	v_perm_b32 v88, v41, v40, s63                              // 000000005D4C: D1ED0058 00FE5129
	v_perm_b32 v89, v41, v40, s64                              // 000000005D54: D1ED0059 01025129
	v_perm_b32 v90, v43, v42, s63                              // 000000005D5C: D1ED005A 00FE552B
	v_perm_b32 v91, v43, v42, s64                              // 000000005D64: D1ED005B 0102552B
	ds_write_b32 v13, v88 offset:13056                         // 000000005D6C: D81A3300 0000580D
	ds_write_b32 v13, v89 offset:14112                         // 000000005D74: D81A3720 0000590D
	ds_write_b32 v13, v90 offset:13184                         // 000000005D7C: D81A3380 00005A0D
	ds_write_b32 v13, v91 offset:14240                         // 000000005D84: D81A37A0 00005B0D
	ds_write_b32 v11, v40 offset:8704                          // 000000005D8C: D81A2200 0000280B
	ds_write_b32 v11, v41 offset:9760                          // 000000005D94: D81A2620 0000290B
	ds_write_b32 v11, v42 offset:8832                          // 000000005D9C: D81A2280 00002A0B
	ds_write_b32 v11, v43 offset:9888                          // 000000005DA4: D81A26A0 00002B0B
	s_waitcnt vmcnt(1) lgkmcnt(0)                              // 000000005DAC: BF8C0071
	s_barrier                                                  // 000000005DB0: BF8A0000
	ds_read_b128 a[144:147], v10                               // 000000005DB4: DBFE0000 9000000A
	ds_read_b128 a[148:151], v10 offset:512                    // 000000005DBC: DBFE0200 9400000A
	ds_read_b128 a[152:155], v10 offset:2176                   // 000000005DC4: DBFE0880 9800000A
	ds_read_b128 a[156:159], v10 offset:2688                   // 000000005DCC: DBFE0A80 9C00000A
	ds_read_b128 v[92:95], v10 offset:8704                     // 000000005DD4: D9FE2200 5C00000A
	ds_read_b128 v[96:99], v10 offset:9216                     // 000000005DDC: D9FE2400 6000000A
	ds_read_b128 v[100:103], v10 offset:10880                  // 000000005DE4: D9FE2A80 6400000A
	ds_read_b128 v[104:107], v10 offset:11392                  // 000000005DEC: D9FE2C80 6800000A
	ds_read_b32 v124, v21 offset:50688                         // 000000005DF4: D86CC600 7C000015
	ds_read_b32 v150, v21 offset:50944                         // 000000005DFC: D86CC700 96000015
	v_accvgpr_write_b32 a160, 0                                // 000000005E04: D3D940A0 18000080
	v_mov_b32_e32 v152, 0                                      // 000000005E0C: 7F300280
	v_accvgpr_write_b32 a161, 0                                // 000000005E10: D3D940A1 18000080
	v_mov_b32_e32 v153, 0                                      // 000000005E18: 7F320280
	v_accvgpr_write_b32 a162, 0                                // 000000005E1C: D3D940A2 18000080
	v_mov_b32_e32 v154, 0                                      // 000000005E24: 7F340280
	v_accvgpr_write_b32 a163, 0                                // 000000005E28: D3D940A3 18000080
	v_mov_b32_e32 v155, 0                                      // 000000005E30: 7F360280
	v_accvgpr_write_b32 a164, 0                                // 000000005E34: D3D940A4 18000080
	v_mov_b32_e32 v156, 0                                      // 000000005E3C: 7F380280
	v_accvgpr_write_b32 a165, 0                                // 000000005E40: D3D940A5 18000080
	v_mov_b32_e32 v157, 0                                      // 000000005E48: 7F3A0280
	v_accvgpr_write_b32 a166, 0                                // 000000005E4C: D3D940A6 18000080
	v_mov_b32_e32 v158, 0                                      // 000000005E54: 7F3C0280
	v_accvgpr_write_b32 a167, 0                                // 000000005E58: D3D940A7 18000080
	v_mov_b32_e32 v159, 0                                      // 000000005E60: 7F3E0280
	v_accvgpr_write_b32 a168, 0                                // 000000005E64: D3D940A8 18000080
	v_mov_b32_e32 v160, 0                                      // 000000005E6C: 7F400280
	v_accvgpr_write_b32 a169, 0                                // 000000005E70: D3D940A9 18000080
	v_mov_b32_e32 v161, 0                                      // 000000005E78: 7F420280
	v_accvgpr_write_b32 a170, 0                                // 000000005E7C: D3D940AA 18000080
	v_mov_b32_e32 v162, 0                                      // 000000005E84: 7F440280
	v_accvgpr_write_b32 a171, 0                                // 000000005E88: D3D940AB 18000080
	v_mov_b32_e32 v163, 0                                      // 000000005E90: 7F460280
	v_accvgpr_write_b32 a172, 0                                // 000000005E94: D3D940AC 18000080
	v_mov_b32_e32 v164, 0                                      // 000000005E9C: 7F480280
	v_accvgpr_write_b32 a173, 0                                // 000000005EA0: D3D940AD 18000080
	v_mov_b32_e32 v165, 0                                      // 000000005EA8: 7F4A0280
	v_accvgpr_write_b32 a174, 0                                // 000000005EAC: D3D940AE 18000080
	v_mov_b32_e32 v166, 0                                      // 000000005EB4: 7F4C0280
	v_accvgpr_write_b32 a175, 0                                // 000000005EB8: D3D940AF 18000080
	v_mov_b32_e32 v167, 0                                      // 000000005EC0: 7F4E0280
	v_accvgpr_write_b32 a176, 0                                // 000000005EC4: D3D940B0 18000080
	v_mov_b32_e32 v168, 0                                      // 000000005ECC: 7F500280
	v_accvgpr_write_b32 a177, 0                                // 000000005ED0: D3D940B1 18000080
	v_mov_b32_e32 v169, 0                                      // 000000005ED8: 7F520280
	v_accvgpr_write_b32 a178, 0                                // 000000005EDC: D3D940B2 18000080
	v_mov_b32_e32 v170, 0                                      // 000000005EE4: 7F540280
	v_accvgpr_write_b32 a179, 0                                // 000000005EE8: D3D940B3 18000080
	v_mov_b32_e32 v171, 0                                      // 000000005EF0: 7F560280
	v_accvgpr_write_b32 a180, 0                                // 000000005EF4: D3D940B4 18000080
	v_mov_b32_e32 v172, 0                                      // 000000005EFC: 7F580280
	v_accvgpr_write_b32 a181, 0                                // 000000005F00: D3D940B5 18000080
	v_mov_b32_e32 v173, 0                                      // 000000005F08: 7F5A0280
	v_accvgpr_write_b32 a182, 0                                // 000000005F0C: D3D940B6 18000080
	v_mov_b32_e32 v174, 0                                      // 000000005F14: 7F5C0280
	v_accvgpr_write_b32 a183, 0                                // 000000005F18: D3D940B7 18000080
	v_mov_b32_e32 v175, 0                                      // 000000005F20: 7F5E0280
	v_accvgpr_write_b32 a184, 0                                // 000000005F24: D3D940B8 18000080
	v_mov_b32_e32 v176, 0                                      // 000000005F2C: 7F600280
	v_accvgpr_write_b32 a185, 0                                // 000000005F30: D3D940B9 18000080
	v_mov_b32_e32 v177, 0                                      // 000000005F38: 7F620280
	v_accvgpr_write_b32 a186, 0                                // 000000005F3C: D3D940BA 18000080
	v_mov_b32_e32 v178, 0                                      // 000000005F44: 7F640280
	v_accvgpr_write_b32 a187, 0                                // 000000005F48: D3D940BB 18000080
	v_mov_b32_e32 v179, 0                                      // 000000005F50: 7F660280
	v_accvgpr_write_b32 a188, 0                                // 000000005F54: D3D940BC 18000080
	v_mov_b32_e32 v180, 0                                      // 000000005F5C: 7F680280
	v_accvgpr_write_b32 a189, 0                                // 000000005F60: D3D940BD 18000080
	v_mov_b32_e32 v181, 0                                      // 000000005F68: 7F6A0280
	v_accvgpr_write_b32 a190, 0                                // 000000005F6C: D3D940BE 18000080
	v_mov_b32_e32 v182, 0                                      // 000000005F74: 7F6C0280
	v_accvgpr_write_b32 a191, 0                                // 000000005F78: D3D940BF 18000080
	v_mov_b32_e32 v183, 0                                      // 000000005F80: 7F6E0280
	v_accvgpr_write_b32 a192, 0                                // 000000005F84: D3D940C0 18000080
	v_mov_b32_e32 v184, 0                                      // 000000005F8C: 7F700280
	v_accvgpr_write_b32 a193, 0                                // 000000005F90: D3D940C1 18000080
	v_mov_b32_e32 v185, 0                                      // 000000005F98: 7F720280
	v_accvgpr_write_b32 a194, 0                                // 000000005F9C: D3D940C2 18000080
	v_mov_b32_e32 v186, 0                                      // 000000005FA4: 7F740280
	v_accvgpr_write_b32 a195, 0                                // 000000005FA8: D3D940C3 18000080
	v_mov_b32_e32 v187, 0                                      // 000000005FB0: 7F760280
	v_accvgpr_write_b32 a196, 0                                // 000000005FB4: D3D940C4 18000080
	v_mov_b32_e32 v188, 0                                      // 000000005FBC: 7F780280
	v_accvgpr_write_b32 a197, 0                                // 000000005FC0: D3D940C5 18000080
	v_mov_b32_e32 v189, 0                                      // 000000005FC8: 7F7A0280
	v_accvgpr_write_b32 a198, 0                                // 000000005FCC: D3D940C6 18000080
	v_mov_b32_e32 v190, 0                                      // 000000005FD4: 7F7C0280
	v_accvgpr_write_b32 a199, 0                                // 000000005FD8: D3D940C7 18000080
	v_mov_b32_e32 v191, 0                                      // 000000005FE0: 7F7E0280
	v_accvgpr_write_b32 a200, 0                                // 000000005FE4: D3D940C8 18000080
	v_mov_b32_e32 v192, 0                                      // 000000005FEC: 7F800280
	v_accvgpr_write_b32 a201, 0                                // 000000005FF0: D3D940C9 18000080
	v_mov_b32_e32 v193, 0                                      // 000000005FF8: 7F820280
	v_accvgpr_write_b32 a202, 0                                // 000000005FFC: D3D940CA 18000080
	v_mov_b32_e32 v194, 0                                      // 000000006004: 7F840280
	v_accvgpr_write_b32 a203, 0                                // 000000006008: D3D940CB 18000080
	v_mov_b32_e32 v195, 0                                      // 000000006010: 7F860280
	v_accvgpr_write_b32 a204, 0                                // 000000006014: D3D940CC 18000080
	v_mov_b32_e32 v196, 0                                      // 00000000601C: 7F880280
	v_accvgpr_write_b32 a205, 0                                // 000000006020: D3D940CD 18000080
	v_mov_b32_e32 v197, 0                                      // 000000006028: 7F8A0280
	v_accvgpr_write_b32 a206, 0                                // 00000000602C: D3D940CE 18000080
	v_mov_b32_e32 v198, 0                                      // 000000006034: 7F8C0280
	v_accvgpr_write_b32 a207, 0                                // 000000006038: D3D940CF 18000080
	v_mov_b32_e32 v199, 0                                      // 000000006040: 7F8E0280
	v_accvgpr_write_b32 a208, 0                                // 000000006044: D3D940D0 18000080
	v_mov_b32_e32 v200, 0                                      // 00000000604C: 7F900280
	v_accvgpr_write_b32 a209, 0                                // 000000006050: D3D940D1 18000080
	v_mov_b32_e32 v201, 0                                      // 000000006058: 7F920280
	v_accvgpr_write_b32 a210, 0                                // 00000000605C: D3D940D2 18000080
	v_mov_b32_e32 v202, 0                                      // 000000006064: 7F940280
	v_accvgpr_write_b32 a211, 0                                // 000000006068: D3D940D3 18000080
	v_mov_b32_e32 v203, 0                                      // 000000006070: 7F960280
	v_accvgpr_write_b32 a212, 0                                // 000000006074: D3D940D4 18000080
	v_mov_b32_e32 v204, 0                                      // 00000000607C: 7F980280
	v_accvgpr_write_b32 a213, 0                                // 000000006080: D3D940D5 18000080
	v_mov_b32_e32 v205, 0                                      // 000000006088: 7F9A0280
	v_accvgpr_write_b32 a214, 0                                // 00000000608C: D3D940D6 18000080
	v_mov_b32_e32 v206, 0                                      // 000000006094: 7F9C0280
	v_accvgpr_write_b32 a215, 0                                // 000000006098: D3D940D7 18000080
	v_mov_b32_e32 v207, 0                                      // 0000000060A0: 7F9E0280
	v_accvgpr_write_b32 a216, 0                                // 0000000060A4: D3D940D8 18000080
	v_mov_b32_e32 v208, 0                                      // 0000000060AC: 7FA00280
	v_accvgpr_write_b32 a217, 0                                // 0000000060B0: D3D940D9 18000080
	v_mov_b32_e32 v209, 0                                      // 0000000060B8: 7FA20280
	v_accvgpr_write_b32 a218, 0                                // 0000000060BC: D3D940DA 18000080
	v_mov_b32_e32 v210, 0                                      // 0000000060C4: 7FA40280
	v_accvgpr_write_b32 a219, 0                                // 0000000060C8: D3D940DB 18000080
	v_mov_b32_e32 v211, 0                                      // 0000000060D0: 7FA60280
	v_accvgpr_write_b32 a220, 0                                // 0000000060D4: D3D940DC 18000080
	v_mov_b32_e32 v212, 0                                      // 0000000060DC: 7FA80280
	v_accvgpr_write_b32 a221, 0                                // 0000000060E0: D3D940DD 18000080
	v_mov_b32_e32 v213, 0                                      // 0000000060E8: 7FAA0280
	v_accvgpr_write_b32 a222, 0                                // 0000000060EC: D3D940DE 18000080
	v_mov_b32_e32 v214, 0                                      // 0000000060F4: 7FAC0280
	v_accvgpr_write_b32 a223, 0                                // 0000000060F8: D3D940DF 18000080
	v_mov_b32_e32 v215, 0                                      // 000000006100: 7FAE0280
	v_accvgpr_write_b32 a224, 0                                // 000000006104: D3D940E0 18000080
	v_mov_b32_e32 v216, 0                                      // 00000000610C: 7FB00280
	v_accvgpr_write_b32 a225, 0                                // 000000006110: D3D940E1 18000080
	v_mov_b32_e32 v217, 0                                      // 000000006118: 7FB20280
	v_accvgpr_write_b32 a226, 0                                // 00000000611C: D3D940E2 18000080
	v_mov_b32_e32 v218, 0                                      // 000000006124: 7FB40280
	v_accvgpr_write_b32 a227, 0                                // 000000006128: D3D940E3 18000080
	v_mov_b32_e32 v219, 0                                      // 000000006130: 7FB60280
	v_accvgpr_write_b32 a228, 0                                // 000000006134: D3D940E4 18000080
	v_mov_b32_e32 v220, 0                                      // 00000000613C: 7FB80280
	v_accvgpr_write_b32 a229, 0                                // 000000006140: D3D940E5 18000080
	v_mov_b32_e32 v221, 0                                      // 000000006148: 7FBA0280
	v_accvgpr_write_b32 a230, 0                                // 00000000614C: D3D940E6 18000080
	v_mov_b32_e32 v222, 0                                      // 000000006154: 7FBC0280
	v_accvgpr_write_b32 a231, 0                                // 000000006158: D3D940E7 18000080
	v_mov_b32_e32 v223, 0                                      // 000000006160: 7FBE0280
	v_accvgpr_write_b32 a232, 0                                // 000000006164: D3D940E8 18000080
	v_mov_b32_e32 v224, 0                                      // 00000000616C: 7FC00280
	v_accvgpr_write_b32 a233, 0                                // 000000006170: D3D940E9 18000080
	v_mov_b32_e32 v225, 0                                      // 000000006178: 7FC20280
	v_accvgpr_write_b32 a234, 0                                // 00000000617C: D3D940EA 18000080
	v_mov_b32_e32 v226, 0                                      // 000000006184: 7FC40280
	v_accvgpr_write_b32 a235, 0                                // 000000006188: D3D940EB 18000080
	v_mov_b32_e32 v227, 0                                      // 000000006190: 7FC60280
	v_accvgpr_write_b32 a236, 0                                // 000000006194: D3D940EC 18000080
	v_mov_b32_e32 v228, 0                                      // 00000000619C: 7FC80280
	v_accvgpr_write_b32 a237, 0                                // 0000000061A0: D3D940ED 18000080
	v_mov_b32_e32 v229, 0                                      // 0000000061A8: 7FCA0280
	v_accvgpr_write_b32 a238, 0                                // 0000000061AC: D3D940EE 18000080
	v_mov_b32_e32 v230, 0                                      // 0000000061B4: 7FCC0280
	v_accvgpr_write_b32 a239, 0                                // 0000000061B8: D3D940EF 18000080
	v_mov_b32_e32 v231, 0                                      // 0000000061C0: 7FCE0280
	v_accvgpr_write_b32 a240, 0                                // 0000000061C4: D3D940F0 18000080
	v_mov_b32_e32 v232, 0                                      // 0000000061CC: 7FD00280
	v_accvgpr_write_b32 a241, 0                                // 0000000061D0: D3D940F1 18000080
	v_mov_b32_e32 v233, 0                                      // 0000000061D8: 7FD20280
	v_accvgpr_write_b32 a242, 0                                // 0000000061DC: D3D940F2 18000080
	v_mov_b32_e32 v234, 0                                      // 0000000061E4: 7FD40280
	v_accvgpr_write_b32 a243, 0                                // 0000000061E8: D3D940F3 18000080
	v_mov_b32_e32 v235, 0                                      // 0000000061F0: 7FD60280
	v_accvgpr_write_b32 a244, 0                                // 0000000061F4: D3D940F4 18000080
	v_mov_b32_e32 v236, 0                                      // 0000000061FC: 7FD80280
	v_accvgpr_write_b32 a245, 0                                // 000000006200: D3D940F5 18000080
	v_mov_b32_e32 v237, 0                                      // 000000006208: 7FDA0280
	v_accvgpr_write_b32 a246, 0                                // 00000000620C: D3D940F6 18000080
	v_mov_b32_e32 v238, 0                                      // 000000006214: 7FDC0280
	v_accvgpr_write_b32 a247, 0                                // 000000006218: D3D940F7 18000080
	v_mov_b32_e32 v239, 0                                      // 000000006220: 7FDE0280
	v_accvgpr_write_b32 a248, 0                                // 000000006224: D3D940F8 18000080
	v_mov_b32_e32 v240, 0                                      // 00000000622C: 7FE00280
	v_accvgpr_write_b32 a249, 0                                // 000000006230: D3D940F9 18000080
	v_mov_b32_e32 v241, 0                                      // 000000006238: 7FE20280
	v_accvgpr_write_b32 a250, 0                                // 00000000623C: D3D940FA 18000080
	v_mov_b32_e32 v242, 0                                      // 000000006244: 7FE40280
	v_accvgpr_write_b32 a251, 0                                // 000000006248: D3D940FB 18000080
	v_mov_b32_e32 v243, 0                                      // 000000006250: 7FE60280
	v_accvgpr_write_b32 a252, 0                                // 000000006254: D3D940FC 18000080
	v_mov_b32_e32 v244, 0                                      // 00000000625C: 7FE80280
	v_accvgpr_write_b32 a253, 0                                // 000000006260: D3D940FD 18000080
	v_mov_b32_e32 v245, 0                                      // 000000006268: 7FEA0280
	v_accvgpr_write_b32 a254, 0                                // 00000000626C: D3D940FE 18000080
	v_mov_b32_e32 v246, 0                                      // 000000006274: 7FEC0280
	v_accvgpr_write_b32 a255, 0                                // 000000006278: D3D940FF 18000080
	v_mov_b32_e32 v247, 0                                      // 000000006280: 7FEE0280
	v_mov_b32_e32 v136, 0                                      // 000000006284: 7F100280
	v_mov_b32_e32 v137, 0                                      // 000000006288: 7F120280
	v_mov_b32_e32 v138, 0                                      // 00000000628C: 7F140280
	v_mov_b32_e32 v139, 0                                      // 000000006290: 7F160280
	v_mov_b32_e32 v140, 0                                      // 000000006294: 7F180280
	v_mov_b32_e32 v141, 0                                      // 000000006298: 7F1A0280
	v_mov_b32_e32 v142, 0                                      // 00000000629C: 7F1C0280
	v_mov_b32_e32 v143, 0                                      // 0000000062A0: 7F1E0280
	v_mov_b32_e32 v128, 0                                      // 0000000062A4: 7F000280
	v_mov_b32_e32 v129, 0                                      // 0000000062A8: 7F020280
	v_mov_b32_e32 v130, 0                                      // 0000000062AC: 7F040280
	v_mov_b32_e32 v131, 0                                      // 0000000062B0: 7F060280
	v_mov_b32_e32 v132, 0                                      // 0000000062B4: 7F080280
	v_mov_b32_e32 v133, 0                                      // 0000000062B8: 7F0A0280
	v_mov_b32_e32 v134, 0                                      // 0000000062BC: 7F0C0280
	v_mov_b32_e32 v135, 0                                      // 0000000062C0: 7F0E0280
	s_waitcnt lgkmcnt(0)                                       // 0000000062C4: BF8CC07F
	s_barrier                                                  // 0000000062C8: BF8A0000
	v_mov_b32_e32 v32, 0                                       // 0000000062CC: 7E400280
	s_mov_b64 exec, s[92:93]                                   // 0000000062D0: BEFE015C
	buffer_load_dword v32, v1, s[8:11], 0 idxen                // 0000000062D4: E0502000 80022001
	s_mov_b64 exec, s[90:91]                                   // 0000000062DC: BEFE015A
	v_mov_b32_e32 v33, 0                                       // 0000000062E0: 7E420280
	s_mov_b64 exec, s[92:93]                                   // 0000000062E4: BEFE015C
	buffer_load_dword v33, v2, s[8:11], 0 idxen                // 0000000062E8: E0502000 80022102
	s_mov_b64 exec, s[90:91]                                   // 0000000062F0: BEFE015A
	v_mov_b32_e32 v34, 0                                       // 0000000062F4: 7E440280
	s_mov_b64 exec, s[92:93]                                   // 0000000062F8: BEFE015C
	buffer_load_dword v34, v3, s[8:11], 0 idxen                // 0000000062FC: E0502000 80022203
	s_mov_b64 exec, s[90:91]                                   // 000000006304: BEFE015A
	v_mov_b32_e32 v35, 0                                       // 000000006308: 7E460280
	s_mov_b64 exec, s[92:93]                                   // 00000000630C: BEFE015C
	buffer_load_dword v35, v4, s[8:11], 0 idxen                // 000000006310: E0502000 80022304
	s_mov_b64 exec, s[90:91]                                   // 000000006318: BEFE015A
	v_mov_b32_e32 v40, 0                                       // 00000000631C: 7E500280
	s_mov_b64 exec, s[92:93]                                   // 000000006320: BEFE015C
	buffer_load_dword v40, v1, s[20:23], 0 idxen               // 000000006324: E0502000 80052801
	s_mov_b64 exec, s[90:91]                                   // 00000000632C: BEFE015A
	v_mov_b32_e32 v41, 0                                       // 000000006330: 7E520280
	s_mov_b64 exec, s[92:93]                                   // 000000006334: BEFE015C
	buffer_load_dword v41, v2, s[20:23], 0 idxen               // 000000006338: E0502000 80052902
	s_mov_b64 exec, s[90:91]                                   // 000000006340: BEFE015A
	v_mov_b32_e32 v42, 0                                       // 000000006344: 7E540280
	s_mov_b64 exec, s[92:93]                                   // 000000006348: BEFE015C
	buffer_load_dword v42, v3, s[20:23], 0 idxen               // 00000000634C: E0502000 80052A03
	s_mov_b64 exec, s[90:91]                                   // 000000006354: BEFE015A
	v_mov_b32_e32 v43, 0                                       // 000000006358: 7E560280
	s_mov_b64 exec, s[92:93]                                   // 00000000635C: BEFE015C
	buffer_load_dword v43, v4, s[20:23], 0 idxen               // 000000006360: E0502000 80052B04
	s_mov_b64 exec, s[90:91]                                   // 000000006368: BEFE015A
	buffer_load_dword v9, s[24:27], 0 idxen lds                // 00000000636C: E0512000 80060009
	s_mov_b32 m0, s79                                          // 000000006374: BEFC004F
	v_add_u32_e32 v9, s69, v9                                  // 000000006378: 68121245
	s_add_u32 s8, s68, s8                                      // 00000000637C: 80080844
	s_addc_u32 s9, 0, s9                                       // 000000006380: 82090980
	s_add_u32 s20, s68, s20                                    // 000000006384: 80141444
	s_addc_u32 s21, 0, s21                                     // 000000006388: 82151580
	v_mul_f32_e32 v124, s49, v124                              // 00000000638C: 0AF8F831
	v_perm_b32 v84, v37, v36, s63                              // 000000006390: D1ED0054 00FE4925
	v_perm_b32 v85, v37, v36, s64                              // 000000006398: D1ED0055 01024925
	v_perm_b32 v86, v39, v38, s63                              // 0000000063A0: D1ED0056 00FE4D27
	v_perm_b32 v87, v39, v38, s64                              // 0000000063A8: D1ED0057 01024D27
	v_perm_b32 v88, v45, v44, s63                              // 0000000063B0: D1ED0058 00FE592D
	v_perm_b32 v89, v45, v44, s64                              // 0000000063B8: D1ED0059 0102592D
	v_perm_b32 v90, v47, v46, s63                              // 0000000063C0: D1ED005A 00FE5D2F
	v_perm_b32 v91, v47, v46, s64                              // 0000000063C8: D1ED005B 01025D2F
	v_mov_b32_dpp v127, v124 quad_perm:[3,3,3,3] row_mask:0xf bank_mask:0xf// 0000000063D0: 7EFE02FA FF00FF7C
	v_mov_b32_dpp v126, v124 quad_perm:[2,2,2,2] row_mask:0xf bank_mask:0xf// 0000000063D8: 7EFC02FA FF00AA7C
	v_mov_b32_dpp v125, v124 quad_perm:[1,1,1,1] row_mask:0xf bank_mask:0xf// 0000000063E0: 7EFA02FA FF00557C
	v_mov_b32_dpp v124, v124 quad_perm:[0,0,0,0] row_mask:0xf bank_mask:0xf// 0000000063E8: 7EF802FA FF00007C
	s_waitcnt vmcnt(9)                                         // 0000000063F0: BF8C0F79
	s_barrier                                                  // 0000000063F4: BF8A0000
	s_cmp_lt_i32 s47, 2                                        // 0000000063F8: BF04822F
	s_cbranch_scc0 label_0F1D                                  // 0000000063FC: BF84059D
	s_nop 0                                                    // 000000006400: BF800000
	s_nop 0                                                    // 000000006404: BF800000
	s_nop 0                                                    // 000000006408: BF800000
	s_nop 0                                                    // 00000000640C: BF800000
	s_nop 0                                                    // 000000006410: BF800000

0000000000006414 <label_0985>:
	s_waitcnt lgkmcnt(4)                                       // 000000006414: BF8CC47F
	s_barrier                                                  // 000000006418: BF8A0000
	v_mfma_f32_16x16x16_f16 v[48:51], a[144:145], a[0:1], 0    // 00000000641C: D3CD0030 1A020190
	ds_write_b32 v11, v44 offset:8704                          // 000000006424: D81A2200 00002C0B
	ds_write_b32 v11, v45 offset:9760                          // 00000000642C: D81A2620 00002D0B
	v_mfma_f32_16x16x16_f16 v[48:51], a[146:147], a[2:3], v[48:51]// 000000006434: D3CD0030 1CC20592
	v_mul_f32_e32 v128, s48, v128                              // 00000000643C: 0B010030
	v_mul_f32_e32 v129, s48, v129                              // 000000006440: 0B030230
	v_mfma_f32_16x16x16_f16 v[48:51], a[148:149], a[4:5], v[48:51]// 000000006444: D3CD0030 1CC20994
	ds_write_b32 v11, v46 offset:8832                          // 00000000644C: D81A2280 00002E0B
	ds_write_b32 v11, v47 offset:9888                          // 000000006454: D81A26A0 00002F0B
	v_mfma_f32_16x16x16_f16 v[48:51], a[150:151], a[6:7], v[48:51]// 00000000645C: D3CD0030 1CC20D96
	v_mul_f32_e32 v130, s48, v130                              // 000000006464: 0B050430
	v_mul_f32_e32 v131, s48, v131                              // 000000006468: 0B070630
	v_mfma_f32_16x16x16_f16 v[48:51], a[152:153], a[8:9], v[48:51]// 00000000646C: D3CD0030 1CC21198
	v_mul_f32_e32 v132, s48, v132                              // 000000006474: 0B090830
	v_mul_f32_e32 v133, s48, v133                              // 000000006478: 0B0B0A30
	v_mfma_f32_16x16x16_f16 v[48:51], a[154:155], a[10:11], v[48:51]// 00000000647C: D3CD0030 1CC2159A
	v_mul_f32_e32 v134, s48, v134                              // 000000006484: 0B0D0C30
	v_mul_f32_e32 v135, s48, v135                              // 000000006488: 0B0F0E30
	v_mfma_f32_16x16x16_f16 v[48:51], a[156:157], a[12:13], v[48:51]// 00000000648C: D3CD0030 1CC2199C
	v_cvt_pkrtz_f16_f32 v128, v128, v129                       // 000000006494: D2960080 00030380
	v_cvt_pkrtz_f16_f32 v129, v130, v131                       // 00000000649C: D2960081 00030782
	v_mfma_f32_16x16x16_f16 v[48:51], a[158:159], a[14:15], v[48:51]// 0000000064A4: D3CD0030 1CC21D9E
	v_cvt_pkrtz_f16_f32 v130, v132, v133                       // 0000000064AC: D2960082 00030B84
	v_cvt_pkrtz_f16_f32 v131, v134, v135                       // 0000000064B4: D2960083 00030F86
	v_mfma_f32_16x16x16_f16 v[52:55], a[144:145], a[16:17], 0  // 0000000064BC: D3CD0034 1A022190
	ds_write_b64 v20, v[128:129] offset:24320                  // 0000000064C4: D89A5F00 00008014
	v_mfma_f32_16x16x16_f16 v[52:55], a[146:147], a[18:19], v[52:55]// 0000000064CC: D3CD0034 1CD22592
	v_mfma_f32_16x16x16_f16 v[52:55], a[148:149], a[20:21], v[52:55]// 0000000064D4: D3CD0034 1CD22994
	ds_write_b64 v20, v[130:131] offset:24864                  // 0000000064DC: D89A6120 00008214
	v_mfma_f32_16x16x16_f16 v[52:55], a[150:151], a[22:23], v[52:55]// 0000000064E4: D3CD0034 1CD22D96
	v_mfma_f32_16x16x16_f16 v[52:55], a[152:153], a[24:25], v[52:55]// 0000000064EC: D3CD0034 1CD23198
	ds_read_b128 v[108:111], v12 offset:13056                  // 0000000064F4: D9FE3300 6C00000C
	ds_write_b32 v11, v36                                      // 0000000064FC: D81A0000 0000240B
	v_mfma_f32_16x16x16_f16 v[52:55], a[154:155], a[26:27], v[52:55]// 000000006504: D3CD0034 1CD2359A
	v_mfma_f32_16x16x16_f16 v[52:55], a[156:157], a[28:29], v[52:55]// 00000000650C: D3CD0034 1CD2399C
	v_mfma_f32_16x16x16_f16 v[52:55], a[158:159], a[30:31], v[52:55]// 000000006514: D3CD0034 1CD23D9E
	ds_read_b128 v[112:115], v12 offset:13568                  // 00000000651C: D9FE3500 7000000C
	ds_write_b32 v11, v37 offset:1056                          // 000000006524: D81A0420 0000250B
	v_mfma_f32_16x16x16_f16 v[56:59], a[144:145], a[32:33], 0  // 00000000652C: D3CD0038 1A024190
	v_mfma_f32_16x16x16_f16 v[56:59], a[146:147], a[34:35], v[56:59]// 000000006534: D3CD0038 1CE24592
	v_mfma_f32_16x16x16_f16 v[56:59], a[148:149], a[36:37], v[56:59]// 00000000653C: D3CD0038 1CE24994
	ds_read_b128 v[116:119], v12 offset:15232                  // 000000006544: D9FE3B80 7400000C
	ds_write_b32 v11, v38 offset:128                           // 00000000654C: D81A0080 0000260B
	v_mfma_f32_16x16x16_f16 v[56:59], a[150:151], a[38:39], v[56:59]// 000000006554: D3CD0038 1CE24D96
	v_mfma_f32_16x16x16_f16 v[56:59], a[152:153], a[40:41], v[56:59]// 00000000655C: D3CD0038 1CE25198
	v_mfma_f32_16x16x16_f16 v[56:59], a[154:155], a[42:43], v[56:59]// 000000006564: D3CD0038 1CE2559A
	ds_read_b128 v[120:123], v12 offset:15744                  // 00000000656C: D9FE3D80 7800000C
	ds_write_b32 v11, v39 offset:1184                          // 000000006574: D81A04A0 0000270B
	v_mfma_f32_16x16x16_f16 v[56:59], a[156:157], a[44:45], v[56:59]// 00000000657C: D3CD0038 1CE2599C
	v_mfma_f32_16x16x16_f16 v[56:59], a[158:159], a[46:47], v[56:59]// 000000006584: D3CD0038 1CE25D9E
	s_cmp_lt_i32 s74, 12                                       // 00000000658C: BF048C4A
	s_cbranch_scc0 label_0A5A                                  // 000000006590: BF840075
	s_mov_b32 s60, 0xffe0fffe                                  // 000000006594: BEBC00FF FFE0FFFE
	s_mov_b32 s61, 0xe000fe00                                  // 00000000659C: BEBD00FF E000FE00
	s_nop 0                                                    // 0000000065A4: BF800000
	s_add_u32 s62, 0, s47                                      // 0000000065A8: 803E2F80
	s_cmp_lt_i32 s74, s62                                      // 0000000065AC: BF043E4A
	s_cbranch_scc1 label_0A15                                  // 0000000065B0: BF850028
	s_cmp_eq_i32 s74, s62                                      // 0000000065B4: BF003E4A
	s_cbranch_scc1 label_09FA                                  // 0000000065B8: BF85000B
	s_add_u32 s62, 4, s47                                      // 0000000065BC: 803E2F84
	s_cmp_lt_i32 s74, s62                                      // 0000000065C0: BF043E4A
	s_cbranch_scc1 label_0A35                                  // 0000000065C4: BF850043
	s_cmp_eq_i32 s74, s62                                      // 0000000065C8: BF003E4A
	s_cbranch_scc1 label_0A1A                                  // 0000000065CC: BF850026
	s_add_u32 s62, 8, s47                                      // 0000000065D0: 803E2F88
	s_cmp_lt_i32 s74, s62                                      // 0000000065D4: BF043E4A
	s_cbranch_scc1 label_0A55                                  // 0000000065D8: BF85005E
	s_cmp_eq_i32 s74, s62                                      // 0000000065DC: BF003E4A
	s_cbranch_scc1 label_0A3A                                  // 0000000065E0: BF850041
	s_branch label_0A5A                                        // 0000000065E4: BF820060

00000000000065e8 <label_09FA>:
	v_cndmask_b32_e64 v48, v48, v151, s[60:61]                 // 0000000065E8: D1000030 00F32F30
	s_lshl_b32 s60, s60, 1                                     // 0000000065F0: 8E3C813C
	s_lshl_b32 s61, s61, 1                                     // 0000000065F4: 8E3D813D
	s_and_b32 s60, 0xfffeffff, s60                             // 0000000065F8: 863C3CFF FFFEFFFF
	s_and_b32 s61, 0xfffeffff, s61                             // 000000006600: 863D3DFF FFFEFFFF
	v_cndmask_b32_e64 v49, v49, v151, s[60:61]                 // 000000006608: D1000031 00F32F31
	s_lshl_b32 s60, s60, 1                                     // 000000006610: 8E3C813C
	s_lshl_b32 s61, s61, 1                                     // 000000006614: 8E3D813D
	s_and_b32 s60, 0xfffeffff, s60                             // 000000006618: 863C3CFF FFFEFFFF
	s_and_b32 s61, 0xfffeffff, s61                             // 000000006620: 863D3DFF FFFEFFFF
	v_cndmask_b32_e64 v50, v50, v151, s[60:61]                 // 000000006628: D1000032 00F32F32
	s_lshl_b32 s60, s60, 1                                     // 000000006630: 8E3C813C
	s_lshl_b32 s61, s61, 1                                     // 000000006634: 8E3D813D
	s_and_b32 s60, 0xfffeffff, s60                             // 000000006638: 863C3CFF FFFEFFFF
	s_and_b32 s61, 0xfffeffff, s61                             // 000000006640: 863D3DFF FFFEFFFF
	v_cndmask_b32_e64 v51, v51, v151, s[60:61]                 // 000000006648: D1000033 00F32F33
	s_branch label_0A35                                        // 000000006650: BF820020

0000000000006654 <label_0A15>:
	v_mov_b32_e32 v48, v151                                    // 000000006654: 7E600397
	v_mov_b32_e32 v49, v151                                    // 000000006658: 7E620397
	v_mov_b32_e32 v50, v151                                    // 00000000665C: 7E640397
	v_mov_b32_e32 v51, v151                                    // 000000006660: 7E660397
	s_branch label_0A35                                        // 000000006664: BF82001B

0000000000006668 <label_0A1A>:
	v_cndmask_b32_e64 v52, v52, v151, s[60:61]                 // 000000006668: D1000034 00F32F34
	s_lshl_b32 s60, s60, 1                                     // 000000006670: 8E3C813C
	s_lshl_b32 s61, s61, 1                                     // 000000006674: 8E3D813D
	s_and_b32 s60, 0xfffeffff, s60                             // 000000006678: 863C3CFF FFFEFFFF
	s_and_b32 s61, 0xfffeffff, s61                             // 000000006680: 863D3DFF FFFEFFFF
	v_cndmask_b32_e64 v53, v53, v151, s[60:61]                 // 000000006688: D1000035 00F32F35
	s_lshl_b32 s60, s60, 1                                     // 000000006690: 8E3C813C
	s_lshl_b32 s61, s61, 1                                     // 000000006694: 8E3D813D
	s_and_b32 s60, 0xfffeffff, s60                             // 000000006698: 863C3CFF FFFEFFFF
	s_and_b32 s61, 0xfffeffff, s61                             // 0000000066A0: 863D3DFF FFFEFFFF
	v_cndmask_b32_e64 v54, v54, v151, s[60:61]                 // 0000000066A8: D1000036 00F32F36
	s_lshl_b32 s60, s60, 1                                     // 0000000066B0: 8E3C813C
	s_lshl_b32 s61, s61, 1                                     // 0000000066B4: 8E3D813D
	s_and_b32 s60, 0xfffeffff, s60                             // 0000000066B8: 863C3CFF FFFEFFFF
	s_and_b32 s61, 0xfffeffff, s61                             // 0000000066C0: 863D3DFF FFFEFFFF
	v_cndmask_b32_e64 v55, v55, v151, s[60:61]                 // 0000000066C8: D1000037 00F32F37
	s_branch label_0A55                                        // 0000000066D0: BF820020

00000000000066d4 <label_0A35>:
	v_mov_b32_e32 v52, v151                                    // 0000000066D4: 7E680397
	v_mov_b32_e32 v53, v151                                    // 0000000066D8: 7E6A0397
	v_mov_b32_e32 v54, v151                                    // 0000000066DC: 7E6C0397
	v_mov_b32_e32 v55, v151                                    // 0000000066E0: 7E6E0397
	s_branch label_0A55                                        // 0000000066E4: BF82001B

00000000000066e8 <label_0A3A>:
	v_cndmask_b32_e64 v56, v56, v151, s[60:61]                 // 0000000066E8: D1000038 00F32F38
	s_lshl_b32 s60, s60, 1                                     // 0000000066F0: 8E3C813C
	s_lshl_b32 s61, s61, 1                                     // 0000000066F4: 8E3D813D
	s_and_b32 s60, 0xfffeffff, s60                             // 0000000066F8: 863C3CFF FFFEFFFF
	s_and_b32 s61, 0xfffeffff, s61                             // 000000006700: 863D3DFF FFFEFFFF
	v_cndmask_b32_e64 v57, v57, v151, s[60:61]                 // 000000006708: D1000039 00F32F39
	s_lshl_b32 s60, s60, 1                                     // 000000006710: 8E3C813C
	s_lshl_b32 s61, s61, 1                                     // 000000006714: 8E3D813D
	s_and_b32 s60, 0xfffeffff, s60                             // 000000006718: 863C3CFF FFFEFFFF
	s_and_b32 s61, 0xfffeffff, s61                             // 000000006720: 863D3DFF FFFEFFFF
	v_cndmask_b32_e64 v58, v58, v151, s[60:61]                 // 000000006728: D100003A 00F32F3A
	s_lshl_b32 s60, s60, 1                                     // 000000006730: 8E3C813C
	s_lshl_b32 s61, s61, 1                                     // 000000006734: 8E3D813D
	s_and_b32 s60, 0xfffeffff, s60                             // 000000006738: 863C3CFF FFFEFFFF
	s_and_b32 s61, 0xfffeffff, s61                             // 000000006740: 863D3DFF FFFEFFFF
	v_cndmask_b32_e64 v59, v59, v151, s[60:61]                 // 000000006748: D100003B 00F32F3B
	s_branch label_0A5A                                        // 000000006750: BF820005

0000000000006754 <label_0A55>:
	v_mov_b32_e32 v56, v151                                    // 000000006754: 7E700397
	v_mov_b32_e32 v57, v151                                    // 000000006758: 7E720397
	v_mov_b32_e32 v58, v151                                    // 00000000675C: 7E740397
	v_mov_b32_e32 v59, v151                                    // 000000006760: 7E760397
	s_branch label_0A5A                                        // 000000006764: BF820000

0000000000006768 <label_0A5A>:
	s_addk_i32 s74, 0x1                                        // 000000006768: B74A0001
	s_waitcnt lgkmcnt(8)                                       // 00000000676C: BF8CC87F
	s_barrier                                                  // 000000006770: BF8A0000
	v_mfma_f32_16x16x16_f16 v[72:75], v[92:93], a[96:97], 0    // 000000006774: D3CD0048 1202C15C
	ds_read_b128 a[144:147], v12 offset:4352                   // 00000000677C: DBFE1100 9000000C
	ds_read_b128 a[148:151], v12 offset:4864                   // 000000006784: DBFE1300 9400000C
	v_mfma_f32_16x16x16_f16 v[72:75], v[94:95], a[98:99], v[72:75]// 00000000678C: D3CD0048 1522C55E
	v_fma_f32 v48, v48, s57, -v124                             // 000000006794: D1CB0030 85F07330
	v_fma_f32 v49, v49, s57, -v125                             // 00000000679C: D1CB0031 85F47331
	v_fma_f32 v50, v50, s57, -v126                             // 0000000067A4: D1CB0032 85F87332
	v_mfma_f32_16x16x16_f16 v[72:75], v[96:97], a[100:101], v[72:75]// 0000000067AC: D3CD0048 1522C960
	v_fma_f32 v51, v51, s57, -v127                             // 0000000067B4: D1CB0033 85FC7333
	v_fma_f32 v52, v52, s57, -v124                             // 0000000067BC: D1CB0034 85F07334
	v_fma_f32 v53, v53, s57, -v125                             // 0000000067C4: D1CB0035 85F47335
	v_mfma_f32_16x16x16_f16 v[72:75], v[98:99], a[102:103], v[72:75]// 0000000067CC: D3CD0048 1522CD62
	v_fma_f32 v54, v54, s57, -v126                             // 0000000067D4: D1CB0036 85F87336
	v_fma_f32 v55, v55, s57, -v127                             // 0000000067DC: D1CB0037 85FC7337
	v_fma_f32 v56, v56, s57, -v124                             // 0000000067E4: D1CB0038 85F07338
	v_mfma_f32_16x16x16_f16 v[72:75], v[100:101], a[104:105], v[72:75]// 0000000067EC: D3CD0048 1522D164
	ds_read_b128 a[152:155], v12 offset:6528                   // 0000000067F4: DBFE1980 9800000C
	ds_read_b128 a[156:159], v12 offset:7040                   // 0000000067FC: DBFE1B80 9C00000C
	v_mfma_f32_16x16x16_f16 v[72:75], v[102:103], a[106:107], v[72:75]// 000000006804: D3CD0048 1522D566
	v_fma_f32 v57, v57, s57, -v125                             // 00000000680C: D1CB0039 85F47339
	v_fma_f32 v58, v58, s57, -v126                             // 000000006814: D1CB003A 85F8733A
	v_fma_f32 v59, v59, s57, -v127                             // 00000000681C: D1CB003B 85FC733B
	v_mfma_f32_16x16x16_f16 v[72:75], v[104:105], a[108:109], v[72:75]// 000000006824: D3CD0048 1522D968
	v_exp_f32_e32 v48, v48                                     // 00000000682C: 7E604130
	v_mfma_f32_16x16x16_f16 v[72:75], v[106:107], a[110:111], v[72:75]// 000000006830: D3CD0048 1522DD6A
	v_exp_f32_e32 v49, v49                                     // 000000006838: 7E624131
	v_mfma_f32_16x16x16_f16 v[76:79], v[92:93], a[112:113], 0  // 00000000683C: D3CD004C 1202E15C
	ds_read_b32 v136, v19 offset:24320                         // 000000006844: D86C5F00 88000013
	ds_read_b32 v137, v19 offset:24336                         // 00000000684C: D86C5F10 89000013
	v_mfma_f32_16x16x16_f16 v[76:79], v[94:95], a[114:115], v[76:79]// 000000006854: D3CD004C 1532E55E
	v_exp_f32_e32 v50, v50                                     // 00000000685C: 7E644132
	v_mfma_f32_16x16x16_f16 v[76:79], v[96:97], a[116:117], v[76:79]// 000000006860: D3CD004C 1532E960
	ds_read_b32 v138, v19 offset:26496                         // 000000006868: D86C6780 8A000013
	ds_read_b32 v139, v19 offset:26512                         // 000000006870: D86C6790 8B000013
	v_mfma_f32_16x16x16_f16 v[76:79], v[98:99], a[118:119], v[76:79]// 000000006878: D3CD004C 1532ED62
	v_exp_f32_e32 v51, v51                                     // 000000006880: 7E664133
	v_mfma_f32_16x16x16_f16 v[76:79], v[100:101], a[120:121], v[76:79]// 000000006884: D3CD004C 1532F164
	v_exp_f32_e32 v52, v52                                     // 00000000688C: 7E684134
	v_mfma_f32_16x16x16_f16 v[76:79], v[102:103], a[122:123], v[76:79]// 000000006890: D3CD004C 1532F566
	v_exp_f32_e32 v53, v53                                     // 000000006898: 7E6A4135
	v_mfma_f32_16x16x16_f16 v[76:79], v[104:105], a[124:125], v[76:79]// 00000000689C: D3CD004C 1532F968
	v_exp_f32_e32 v54, v54                                     // 0000000068A4: 7E6C4136
	v_mfma_f32_16x16x16_f16 v[76:79], v[106:107], a[126:127], v[76:79]// 0000000068A8: D3CD004C 1532FD6A
	v_exp_f32_e32 v55, v55                                     // 0000000068B0: 7E6E4137
	v_mfma_f32_16x16x16_f16 v[80:83], v[92:93], a[128:129], 0  // 0000000068B4: D3CD0050 1203015C
	v_exp_f32_e32 v56, v56                                     // 0000000068BC: 7E704138
	v_mfma_f32_16x16x16_f16 v[80:83], v[94:95], a[130:131], v[80:83]// 0000000068C0: D3CD0050 1543055E
	v_exp_f32_e32 v57, v57                                     // 0000000068C8: 7E724139
	v_mfma_f32_16x16x16_f16 v[80:83], v[96:97], a[132:133], v[80:83]// 0000000068CC: D3CD0050 15430960
	v_exp_f32_e32 v58, v58                                     // 0000000068D4: 7E74413A
	v_mfma_f32_16x16x16_f16 v[80:83], v[98:99], a[134:135], v[80:83]// 0000000068D8: D3CD0050 15430D62
	v_exp_f32_e32 v59, v59                                     // 0000000068E0: 7E76413B
	v_mfma_f32_16x16x16_f16 v[80:83], v[100:101], a[136:137], v[80:83]// 0000000068E4: D3CD0050 15431164
	v_cvt_pkrtz_f16_f32 v144, v48, v49                         // 0000000068EC: D2960090 00026330
	v_cvt_pkrtz_f16_f32 v145, v50, v51                         // 0000000068F4: D2960091 00026732
	v_cvt_pkrtz_f16_f32 v146, v52, v53                         // 0000000068FC: D2960092 00026B34
	v_mfma_f32_16x16x16_f16 v[80:83], v[102:103], a[138:139], v[80:83]// 000000006904: D3CD0050 15431566
	v_cvt_pkrtz_f16_f32 v147, v54, v55                         // 00000000690C: D2960093 00026F36
	v_cvt_pkrtz_f16_f32 v148, v56, v57                         // 000000006914: D2960094 00027338
	v_cvt_pkrtz_f16_f32 v149, v58, v59                         // 00000000691C: D2960095 0002773A
	v_mfma_f32_16x16x16_f16 v[80:83], v[104:105], a[140:141], v[80:83]// 000000006924: D3CD0050 15431968
	s_add_u32 s32, s66, s32                                    // 00000000692C: 80202042
	s_addc_u32 s33, 0, s33                                     // 000000006930: 82212180
	v_mfma_f32_16x16x16_f16 v[80:83], v[106:107], a[142:143], v[80:83]// 000000006934: D3CD0050 15431D6A
	s_waitcnt lgkmcnt(0)                                       // 00000000693C: BF8CC07F
	s_barrier                                                  // 000000006940: BF8A0000
	v_mfma_f32_16x16x16_f16 v[152:155], v[108:109], v[144:145], v[152:155]// 000000006944: D3CD0098 0663216C
	v_subrev_f32_dpp v72, v150, v72 quad_perm:[0,0,0,0] row_mask:0xf bank_mask:0xf// 00000000694C: 069090FA FF000096
	v_subrev_f32_dpp v73, v150, v73 quad_perm:[1,1,1,1] row_mask:0xf bank_mask:0xf// 000000006954: 069292FA FF005596
	v_subrev_f32_dpp v74, v150, v74 quad_perm:[2,2,2,2] row_mask:0xf bank_mask:0xf// 00000000695C: 069494FA FF00AA96
	v_mfma_f32_16x16x16_f16 v[156:159], v[110:111], v[144:145], v[156:159]// 000000006964: D3CD009C 0673216E
	v_subrev_f32_dpp v75, v150, v75 quad_perm:[3,3,3,3] row_mask:0xf bank_mask:0xf// 00000000696C: 069696FA FF00FF96
	v_subrev_f32_dpp v76, v150, v76 quad_perm:[0,0,0,0] row_mask:0xf bank_mask:0xf// 000000006974: 069898FA FF000096
	v_subrev_f32_dpp v77, v150, v77 quad_perm:[1,1,1,1] row_mask:0xf bank_mask:0xf// 00000000697C: 069A9AFA FF005596
	v_mfma_f32_16x16x16_f16 v[160:163], v[112:113], v[144:145], v[160:163]// 000000006984: D3CD00A0 06832170
	v_mul_f32_e32 v72, v48, v72                                // 00000000698C: 0A909130
	v_mul_f32_e32 v73, v49, v73                                // 000000006990: 0A929331
	v_mul_f32_e32 v74, v50, v74                                // 000000006994: 0A949532
	v_mfma_f32_16x16x16_f16 v[164:167], v[114:115], v[144:145], v[164:167]// 000000006998: D3CD00A4 06932172
	v_mul_f32_e32 v75, v51, v75                                // 0000000069A0: 0A969733
	v_mul_f32_e32 v76, v52, v76                                // 0000000069A4: 0A989934
	v_mul_f32_e32 v77, v53, v77                                // 0000000069A8: 0A9A9B35
	v_mfma_f32_16x16x16_f16 v[168:171], v[116:117], v[144:145], v[168:171]// 0000000069AC: D3CD00A8 06A32174
	v_cvt_pkrtz_f16_f32 v72, v72, v73                          // 0000000069B4: D2960048 00029348
	v_cvt_pkrtz_f16_f32 v73, v74, v75                          // 0000000069BC: D2960049 0002974A
	v_cvt_pkrtz_f16_f32 v74, v76, v77                          // 0000000069C4: D296004A 00029B4C
	v_mfma_f32_16x16x16_f16 v[172:175], v[118:119], v[144:145], v[172:175]// 0000000069CC: D3CD00AC 06B32176
	v_mov_b32_dpp v16, v72 quad_perm:[1,0,3,2] row_mask:0xf bank_mask:0xf// 0000000069D4: 7E2002FA FF00B148
	v_perm_b32 v48, v16, v72, v15                              // 0000000069DC: D1ED0030 043E9110
	v_mov_b32_dpp v16, v73 quad_perm:[1,0,3,2] row_mask:0xf bank_mask:0xf// 0000000069E4: 7E2002FA FF00B149
	v_mfma_f32_16x16x16_f16 v[176:179], v[120:121], v[144:145], v[176:179]// 0000000069EC: D3CD00B0 06C32178
	v_perm_b32 v49, v16, v73, v15                              // 0000000069F4: D1ED0031 043E9310
	v_mov_b32_dpp v16, v74 quad_perm:[1,0,3,2] row_mask:0xf bank_mask:0xf// 0000000069FC: 7E2002FA FF00B14A
	v_perm_b32 v50, v16, v74, v15                              // 000000006A04: D1ED0032 043E9510
	v_mfma_f32_16x16x16_f16 v[180:183], v[122:123], v[144:145], v[180:183]// 000000006A0C: D3CD00B4 06D3217A
	ds_write_b32 v18, v48 offset:17408                         // 000000006A14: D81A4400 00003012
	v_mfma_f32_16x16x16_f16 v[184:187], v[108:109], v[146:147], v[184:187]// 000000006A1C: D3CD00B8 06E3256C
	v_subrev_f32_dpp v78, v150, v78 quad_perm:[2,2,2,2] row_mask:0xf bank_mask:0xf// 000000006A24: 069C9CFA FF00AA96
	v_subrev_f32_dpp v79, v150, v79 quad_perm:[3,3,3,3] row_mask:0xf bank_mask:0xf// 000000006A2C: 069E9EFA FF00FF96
	v_subrev_f32_dpp v80, v150, v80 quad_perm:[0,0,0,0] row_mask:0xf bank_mask:0xf// 000000006A34: 06A0A0FA FF000096
	v_mfma_f32_16x16x16_f16 v[188:191], v[110:111], v[146:147], v[188:191]// 000000006A3C: D3CD00BC 06F3256E
	ds_write_b32 v18, v49 offset:17952                         // 000000006A44: D81A4620 00003112
	v_mfma_f32_16x16x16_f16 v[192:195], v[112:113], v[146:147], v[192:195]// 000000006A4C: D3CD00C0 07032570
	v_subrev_f32_dpp v81, v150, v81 quad_perm:[1,1,1,1] row_mask:0xf bank_mask:0xf// 000000006A54: 06A2A2FA FF005596
	v_subrev_f32_dpp v82, v150, v82 quad_perm:[2,2,2,2] row_mask:0xf bank_mask:0xf// 000000006A5C: 06A4A4FA FF00AA96
	v_subrev_f32_dpp v83, v150, v83 quad_perm:[3,3,3,3] row_mask:0xf bank_mask:0xf// 000000006A64: 06A6A6FA FF00FF96
	v_mfma_f32_16x16x16_f16 v[196:199], v[114:115], v[146:147], v[196:199]// 000000006A6C: D3CD00C4 07132572
	ds_write_b32 v18, v50 offset:19712                         // 000000006A74: D81A4D00 00003212
	v_mfma_f32_16x16x16_f16 v[200:203], v[116:117], v[146:147], v[200:203]// 000000006A7C: D3CD00C8 07232574
	v_mul_f32_e32 v78, v54, v78                                // 000000006A84: 0A9C9D36
	v_mul_f32_e32 v79, v55, v79                                // 000000006A88: 0A9E9F37
	v_mul_f32_e32 v80, v56, v80                                // 000000006A8C: 0AA0A138
	v_mfma_f32_16x16x16_f16 v[204:207], v[118:119], v[146:147], v[204:207]// 000000006A90: D3CD00CC 07332576
	v_mul_f32_e32 v81, v57, v81                                // 000000006A98: 0AA2A339
	v_mul_f32_e32 v82, v58, v82                                // 000000006A9C: 0AA4A53A
	v_mul_f32_e32 v83, v59, v83                                // 000000006AA0: 0AA6A73B
	v_mfma_f32_16x16x16_f16 v[208:211], v[120:121], v[146:147], v[208:211]// 000000006AA4: D3CD00D0 07432578
	v_cvt_pkrtz_f16_f32 v75, v78, v79                          // 000000006AAC: D296004B 00029F4E
	v_cvt_pkrtz_f16_f32 v76, v80, v81                          // 000000006AB4: D296004C 0002A350
	v_cvt_pkrtz_f16_f32 v77, v82, v83                          // 000000006ABC: D296004D 0002A752
	v_mfma_f32_16x16x16_f16 v[212:215], v[122:123], v[146:147], v[212:215]// 000000006AC4: D3CD00D4 0753257A
	v_mov_b32_dpp v16, v75 quad_perm:[1,0,3,2] row_mask:0xf bank_mask:0xf// 000000006ACC: 7E2002FA FF00B14B
	v_perm_b32 v51, v16, v75, v15                              // 000000006AD4: D1ED0033 043E9710
	v_mov_b32_dpp v16, v76 quad_perm:[1,0,3,2] row_mask:0xf bank_mask:0xf// 000000006ADC: 7E2002FA FF00B14C
	v_mfma_f32_16x16x16_f16 v[216:219], v[108:109], v[148:149], v[216:219]// 000000006AE4: D3CD00D8 0763296C
	v_perm_b32 v52, v16, v76, v15                              // 000000006AEC: D1ED0034 043E9910
	v_mov_b32_dpp v16, v77 quad_perm:[1,0,3,2] row_mask:0xf bank_mask:0xf// 000000006AF4: 7E2002FA FF00B14D
	v_perm_b32 v53, v16, v77, v15                              // 000000006AFC: D1ED0035 043E9B10
	v_mfma_f32_16x16x16_f16 v[220:223], v[110:111], v[148:149], v[220:223]// 000000006B04: D3CD00DC 0773296E
	ds_write_b32 v18, v51 offset:20256                         // 000000006B0C: D81A4F20 00003312
	v_mfma_f32_16x16x16_f16 v[224:227], v[112:113], v[148:149], v[224:227]// 000000006B14: D3CD00E0 07832970
	v_mfma_f32_16x16x16_f16 v[228:231], v[114:115], v[148:149], v[228:231]// 000000006B1C: D3CD00E4 07932972
	ds_write_b32 v18, v52 offset:22016                         // 000000006B24: D81A5600 00003412
	ds_write_b32 v18, v53 offset:22560                         // 000000006B2C: D81A5820 00003512
	v_mfma_f32_16x16x16_f16 v[232:235], v[116:117], v[148:149], v[232:235]// 000000006B34: D3CD00E8 07A32974
	v_mfma_f32_16x16x16_f16 v[236:239], v[118:119], v[148:149], v[236:239]// 000000006B3C: D3CD00EC 07B32976
	ds_write_b32 v13, v84 offset:4352                          // 000000006B44: D81A1100 0000540D
	ds_write_b32 v13, v85 offset:5408                          // 000000006B4C: D81A1520 0000550D
	v_mfma_f32_16x16x16_f16 v[240:243], v[120:121], v[148:149], v[240:243]// 000000006B54: D3CD00F0 07C32978
	s_nop 0                                                    // 000000006B5C: BF800000
	s_nop 0                                                    // 000000006B60: BF800000
	s_nop 0                                                    // 000000006B64: BF800000
	v_mfma_f32_16x16x16_f16 v[244:247], v[122:123], v[148:149], v[244:247]// 000000006B68: D3CD00F4 07D3297A
	ds_write_b32 v13, v86 offset:4480                          // 000000006B70: D81A1180 0000560D
	ds_write_b32 v13, v87 offset:5536                          // 000000006B78: D81A15A0 0000570D
	s_barrier                                                  // 000000006B80: BF8A0000
	v_mfma_f32_16x16x16_f16 a[160:163], a[144:145], v[72:73], a[160:163]// 000000006B84: D3CD80A0 0E829190
	buffer_atomic_pk_add_f16 v136, v7, s[32:35], 0 idxen       // 000000006B8C: E1382000 80088807
	v_mfma_f32_16x16x16_f16 a[164:167], a[146:147], v[72:73], a[164:167]// 000000006B94: D3CD80A4 0E929192
	ds_read_b32 v124, v21 offset:51200                         // 000000006B9C: D86CC800 7C000015
	ds_read_b32 v150, v21 offset:51456                         // 000000006BA4: D86CC900 96000015
	v_mfma_f32_16x16x16_f16 a[168:171], a[148:149], v[72:73], a[168:171]// 000000006BAC: D3CD80A8 0EA29194
	s_waitcnt lgkmcnt(6)                                       // 000000006BB4: BF8CC67F
	s_barrier                                                  // 000000006BB8: BF8A0000
	v_mfma_f32_16x16x16_f16 a[172:175], a[150:151], v[72:73], a[172:175]// 000000006BBC: D3CD80AC 0EB29196
	ds_read_b128 v[48:51], v17 offset:17408                    // 000000006BC4: D9FE4400 30000011
	v_mfma_f32_16x16x16_f16 a[176:179], a[152:153], v[72:73], a[176:179]// 000000006BCC: D3CD80B0 0EC29198
	v_mfma_f32_16x16x16_f16 a[180:183], a[154:155], v[72:73], a[180:183]// 000000006BD4: D3CD80B4 0ED2919A
	ds_read_b128 v[52:55], v17 offset:18560                    // 000000006BDC: D9FE4880 34000011
	v_mfma_f32_16x16x16_f16 a[184:187], a[156:157], v[72:73], a[184:187]// 000000006BE4: D3CD80B8 0EE2919C
	buffer_atomic_pk_add_f16 v137, v8, s[32:35], 0 idxen       // 000000006BEC: E1382000 80088908
	v_mfma_f32_16x16x16_f16 a[188:191], a[158:159], v[72:73], a[188:191]// 000000006BF4: D3CD80BC 0EF2919E
	ds_read_b128 v[56:59], v17 offset:19712                    // 000000006BFC: D9FE4D00 38000011
	v_mfma_f32_16x16x16_f16 a[192:195], a[144:145], v[74:75], a[192:195]// 000000006C04: D3CD80C0 0F029590
	v_mfma_f32_16x16x16_f16 a[196:199], a[146:147], v[74:75], a[196:199]// 000000006C0C: D3CD80C4 0F129592
	ds_read_b128 v[60:63], v17 offset:20864                    // 000000006C14: D9FE5180 3C000011
	v_mfma_f32_16x16x16_f16 a[200:203], a[148:149], v[74:75], a[200:203]// 000000006C1C: D3CD80C8 0F229594
	v_mfma_f32_16x16x16_f16 a[204:207], a[150:151], v[74:75], a[204:207]// 000000006C24: D3CD80CC 0F329596
	ds_read_b128 v[64:67], v17 offset:22016                    // 000000006C2C: D9FE5600 40000011
	v_mfma_f32_16x16x16_f16 a[208:211], a[152:153], v[74:75], a[208:211]// 000000006C34: D3CD80D0 0F429598
	s_mov_b64 exec, s[96:97]                                   // 000000006C3C: BEFE0160
	buffer_atomic_pk_add_f16 v138, v7, s[32:35], 0 idxen offset:128// 000000006C40: E1382080 80088A07
	s_mov_b64 exec, s[90:91]                                   // 000000006C48: BEFE015A
	v_mfma_f32_16x16x16_f16 a[212:215], a[154:155], v[74:75], a[212:215]// 000000006C4C: D3CD80D4 0F52959A
	ds_read_b128 v[68:71], v17 offset:23168                    // 000000006C54: D9FE5A80 44000011
	v_mfma_f32_16x16x16_f16 a[216:219], a[156:157], v[74:75], a[216:219]// 000000006C5C: D3CD80D8 0F62959C
	v_mfma_f32_16x16x16_f16 a[220:223], a[158:159], v[74:75], a[220:223]// 000000006C64: D3CD80DC 0F72959E
	ds_write_b32 v13, v88 offset:13056                         // 000000006C6C: D81A3300 0000580D
	v_mfma_f32_16x16x16_f16 a[224:227], a[144:145], v[76:77], a[224:227]// 000000006C74: D3CD80E0 0F829990
	v_mfma_f32_16x16x16_f16 a[228:231], a[146:147], v[76:77], a[228:231]// 000000006C7C: D3CD80E4 0F929992
	ds_write_b32 v13, v89 offset:14112                         // 000000006C84: D81A3720 0000590D
	v_mfma_f32_16x16x16_f16 a[232:235], a[148:149], v[76:77], a[232:235]// 000000006C8C: D3CD80E8 0FA29994
	s_mov_b64 exec, s[96:97]                                   // 000000006C94: BEFE0160
	buffer_atomic_pk_add_f16 v139, v8, s[32:35], 0 idxen offset:128// 000000006C98: E1382080 80088B08
	s_mov_b64 exec, s[90:91]                                   // 000000006CA0: BEFE015A
	v_mfma_f32_16x16x16_f16 a[236:239], a[150:151], v[76:77], a[236:239]// 000000006CA4: D3CD80EC 0FB29996
	ds_write_b32 v13, v90 offset:13184                         // 000000006CAC: D81A3380 00005A0D
	v_mfma_f32_16x16x16_f16 a[240:243], a[152:153], v[76:77], a[240:243]// 000000006CB4: D3CD80F0 0FC29998
	v_mfma_f32_16x16x16_f16 a[244:247], a[154:155], v[76:77], a[244:247]// 000000006CBC: D3CD80F4 0FD2999A
	ds_write_b32 v13, v91 offset:14240                         // 000000006CC4: D81A37A0 00005B0D
	v_mfma_f32_16x16x16_f16 a[248:251], a[156:157], v[76:77], a[248:251]// 000000006CCC: D3CD80F8 0FE2999C
	v_mfma_f32_16x16x16_f16 a[252:255], a[158:159], v[76:77], a[252:255]// 000000006CD4: D3CD80FC 0FF2999E
	s_waitcnt vmcnt(4) lgkmcnt(4)                              // 000000006CDC: BF8C0474
	s_barrier                                                  // 000000006CE0: BF8A0000
	v_mfma_f32_16x16x16_f16 v[128:131], a[48:49], v[48:49], 0  // 000000006CE4: D3CD0080 0A026130
	v_mul_f32_e32 v124, s49, v124                              // 000000006CEC: 0AF8F831
	s_nop 0                                                    // 000000006CF0: BF800000
	v_mfma_f32_16x16x16_f16 v[128:131], a[52:53], v[50:51], v[128:131]// 000000006CF4: D3CD0080 0E026534
	ds_read_b128 a[144:147], v10                               // 000000006CFC: DBFE0000 9000000A
	v_mov_b32_e32 v36, 0                                       // 000000006D04: 7E480280
	s_mov_b64 exec, s[92:93]                                   // 000000006D08: BEFE015C
	buffer_load_dword v36, v1, s[8:11], 0 idxen                // 000000006D0C: E0502000 80022401
	s_mov_b64 exec, s[90:91]                                   // 000000006D14: BEFE015A
	v_mfma_f32_16x16x16_f16 v[128:131], a[56:57], v[52:53], v[128:131]// 000000006D18: D3CD0080 0E026938
	v_mfma_f32_16x16x16_f16 v[128:131], a[60:61], v[54:55], v[128:131]// 000000006D20: D3CD0080 0E026D3C
	ds_read_b128 a[148:151], v10 offset:512                    // 000000006D28: DBFE0200 9400000A
	v_mov_b32_e32 v37, 0                                       // 000000006D30: 7E4A0280
	s_mov_b64 exec, s[92:93]                                   // 000000006D34: BEFE015C
	buffer_load_dword v37, v2, s[8:11], 0 idxen                // 000000006D38: E0502000 80022502
	s_mov_b64 exec, s[90:91]                                   // 000000006D40: BEFE015A
	v_mfma_f32_16x16x16_f16 v[128:131], a[64:65], v[56:57], v[128:131]// 000000006D44: D3CD0080 0E027140
	v_perm_b32 v84, v33, v32, s63                              // 000000006D4C: D1ED0054 00FE4121
	v_perm_b32 v85, v33, v32, s64                              // 000000006D54: D1ED0055 01024121
	v_mfma_f32_16x16x16_f16 v[128:131], a[68:69], v[58:59], v[128:131]// 000000006D5C: D3CD0080 0E027544
	ds_read_b128 a[152:155], v10 offset:2176                   // 000000006D64: DBFE0880 9800000A
	v_mov_b32_e32 v38, 0                                       // 000000006D6C: 7E4C0280
	s_mov_b64 exec, s[92:93]                                   // 000000006D70: BEFE015C
	buffer_load_dword v38, v3, s[8:11], 0 idxen                // 000000006D74: E0502000 80022603
	s_mov_b64 exec, s[90:91]                                   // 000000006D7C: BEFE015A
	v_mfma_f32_16x16x16_f16 v[128:131], a[72:73], v[60:61], v[128:131]// 000000006D80: D3CD0080 0E027948
	v_perm_b32 v86, v35, v34, s63                              // 000000006D88: D1ED0056 00FE4523
	v_perm_b32 v87, v35, v34, s64                              // 000000006D90: D1ED0057 01024523
	v_mfma_f32_16x16x16_f16 v[128:131], a[76:77], v[62:63], v[128:131]// 000000006D98: D3CD0080 0E027D4C
	ds_read_b128 a[156:159], v10 offset:2688                   // 000000006DA0: DBFE0A80 9C00000A
	v_mov_b32_e32 v39, 0                                       // 000000006DA8: 7E4E0280
	s_mov_b64 exec, s[92:93]                                   // 000000006DAC: BEFE015C
	buffer_load_dword v39, v4, s[8:11], 0 idxen                // 000000006DB0: E0502000 80022704
	s_mov_b64 exec, s[90:91]                                   // 000000006DB8: BEFE015A
	v_mfma_f32_16x16x16_f16 v[128:131], a[80:81], v[64:65], v[128:131]// 000000006DBC: D3CD0080 0E028150
	v_perm_b32 v88, v41, v40, s63                              // 000000006DC4: D1ED0058 00FE5129
	v_perm_b32 v89, v41, v40, s64                              // 000000006DCC: D1ED0059 01025129
	v_mfma_f32_16x16x16_f16 v[128:131], a[84:85], v[66:67], v[128:131]// 000000006DD4: D3CD0080 0E028554
	ds_read_b128 v[92:95], v10 offset:8704                     // 000000006DDC: D9FE2200 5C00000A
	v_mov_b32_e32 v44, 0                                       // 000000006DE4: 7E580280
	s_mov_b64 exec, s[92:93]                                   // 000000006DE8: BEFE015C
	buffer_load_dword v44, v1, s[20:23], 0 idxen               // 000000006DEC: E0502000 80052C01
	s_mov_b64 exec, s[90:91]                                   // 000000006DF4: BEFE015A
	v_mfma_f32_16x16x16_f16 v[128:131], a[88:89], v[68:69], v[128:131]// 000000006DF8: D3CD0080 0E028958
	v_perm_b32 v90, v43, v42, s63                              // 000000006E00: D1ED005A 00FE552B
	v_perm_b32 v91, v43, v42, s64                              // 000000006E08: D1ED005B 0102552B
	v_mfma_f32_16x16x16_f16 v[128:131], a[92:93], v[70:71], v[128:131]// 000000006E10: D3CD0080 0E028D5C
	ds_read_b128 v[96:99], v10 offset:9216                     // 000000006E18: D9FE2400 6000000A
	v_mov_b32_e32 v45, 0                                       // 000000006E20: 7E5A0280
	s_mov_b64 exec, s[92:93]                                   // 000000006E24: BEFE015C
	buffer_load_dword v45, v2, s[20:23], 0 idxen               // 000000006E28: E0502000 80052D02
	s_mov_b64 exec, s[90:91]                                   // 000000006E30: BEFE015A
	v_mfma_f32_16x16x16_f16 v[132:135], a[50:51], v[48:49], 0  // 000000006E34: D3CD0084 0A026132
	v_mov_b32_dpp v127, v124 quad_perm:[3,3,3,3] row_mask:0xf bank_mask:0xf// 000000006E3C: 7EFE02FA FF00FF7C
	v_mov_b32_dpp v126, v124 quad_perm:[2,2,2,2] row_mask:0xf bank_mask:0xf// 000000006E44: 7EFC02FA FF00AA7C
	v_mfma_f32_16x16x16_f16 v[132:135], a[54:55], v[50:51], v[132:135]// 000000006E4C: D3CD0084 0E126536
	ds_read_b128 v[100:103], v10 offset:10880                  // 000000006E54: D9FE2A80 6400000A
	v_mov_b32_e32 v46, 0                                       // 000000006E5C: 7E5C0280
	s_mov_b64 exec, s[92:93]                                   // 000000006E60: BEFE015C
	buffer_load_dword v46, v3, s[20:23], 0 idxen               // 000000006E64: E0502000 80052E03
	s_mov_b64 exec, s[90:91]                                   // 000000006E6C: BEFE015A
	v_mfma_f32_16x16x16_f16 v[132:135], a[58:59], v[52:53], v[132:135]// 000000006E70: D3CD0084 0E12693A
	v_mov_b32_dpp v125, v124 quad_perm:[1,1,1,1] row_mask:0xf bank_mask:0xf// 000000006E78: 7EFA02FA FF00557C
	v_mov_b32_dpp v124, v124 quad_perm:[0,0,0,0] row_mask:0xf bank_mask:0xf// 000000006E80: 7EF802FA FF00007C
	s_add_u32 s60, 64, s59                                     // 000000006E88: 803C3BC0
	v_mfma_f32_16x16x16_f16 v[132:135], a[62:63], v[54:55], v[132:135]// 000000006E8C: D3CD0084 0E126D3E
	ds_read_b128 v[104:107], v10 offset:11392                  // 000000006E94: D9FE2C80 6800000A
	v_mov_b32_e32 v47, 0                                       // 000000006E9C: 7E5E0280
	s_mov_b64 exec, s[92:93]                                   // 000000006EA0: BEFE015C
	buffer_load_dword v47, v4, s[20:23], 0 idxen               // 000000006EA4: E0502000 80052F04
	s_mov_b64 exec, s[90:91]                                   // 000000006EAC: BEFE015A
	v_mfma_f32_16x16x16_f16 v[132:135], a[66:67], v[56:57], v[132:135]// 000000006EB0: D3CD0084 0E127142
	s_cmp_lt_u32 s60, s58                                      // 000000006EB8: BF0A3A3C
	s_cselect_b32 s68, s68, 0                                  // 000000006EBC: 85448044
	s_cselect_b32 s69, s69, 0                                  // 000000006EC0: 85458045
	v_mfma_f32_16x16x16_f16 v[132:135], a[70:71], v[58:59], v[132:135]// 000000006EC4: D3CD0084 0E127546
	buffer_load_dword v9, s[24:27], 0 idxen lds                // 000000006ECC: E0512000 80060009
	v_mfma_f32_16x16x16_f16 v[132:135], a[74:75], v[60:61], v[132:135]// 000000006ED4: D3CD0084 0E12794A
	s_add_u32 s8, s68, s8                                      // 000000006EDC: 80080844
	s_addc_u32 s9, 0, s9                                       // 000000006EE0: 82090980
	v_mfma_f32_16x16x16_f16 v[132:135], a[78:79], v[62:63], v[132:135]// 000000006EE4: D3CD0084 0E127D4E
	s_add_u32 s20, s68, s20                                    // 000000006EEC: 80141444
	s_addc_u32 s21, 0, s21                                     // 000000006EF0: 82151580
	v_mfma_f32_16x16x16_f16 v[132:135], a[82:83], v[64:65], v[132:135]// 000000006EF4: D3CD0084 0E128152
	s_mov_b32 m0, s78                                          // 000000006EFC: BEFC004E
	v_add_u32_e32 v9, s69, v9                                  // 000000006F00: 68121245
	v_mfma_f32_16x16x16_f16 v[132:135], a[86:87], v[66:67], v[132:135]// 000000006F04: D3CD0084 0E128556
	s_cmp_ge_u32 s59, s73                                      // 000000006F0C: BF09493B
	s_cselect_b32 s66, s67, s66                                // 000000006F10: 85424243
	v_mfma_f32_16x16x16_f16 v[132:135], a[90:91], v[68:69], v[132:135]// 000000006F14: D3CD0084 0E12895A
	s_addk_i32 s59, 0x10                                       // 000000006F1C: B73B0010
	s_nop 0                                                    // 000000006F20: BF800000
	s_cmp_lt_i32 s59, s58                                      // 000000006F24: BF043A3B
	v_mfma_f32_16x16x16_f16 v[132:135], a[94:95], v[70:71], v[132:135]// 000000006F28: D3CD0084 0E128D5E
	s_cbranch_scc0 label_0F16                                  // 000000006F30: BF8402C9
	s_waitcnt lgkmcnt(4)                                       // 000000006F34: BF8CC47F
	s_barrier                                                  // 000000006F38: BF8A0000
	v_mfma_f32_16x16x16_f16 v[48:51], a[144:145], a[0:1], 0    // 000000006F3C: D3CD0030 1A020190
	ds_write_b32 v11, v40 offset:8704                          // 000000006F44: D81A2200 0000280B
	ds_write_b32 v11, v41 offset:9760                          // 000000006F4C: D81A2620 0000290B
	v_mfma_f32_16x16x16_f16 v[48:51], a[146:147], a[2:3], v[48:51]// 000000006F54: D3CD0030 1CC20592
	v_mul_f32_e32 v128, s48, v128                              // 000000006F5C: 0B010030
	v_mul_f32_e32 v129, s48, v129                              // 000000006F60: 0B030230
	v_mfma_f32_16x16x16_f16 v[48:51], a[148:149], a[4:5], v[48:51]// 000000006F64: D3CD0030 1CC20994
	ds_write_b32 v11, v42 offset:8832                          // 000000006F6C: D81A2280 00002A0B
	ds_write_b32 v11, v43 offset:9888                          // 000000006F74: D81A26A0 00002B0B
	v_mfma_f32_16x16x16_f16 v[48:51], a[150:151], a[6:7], v[48:51]// 000000006F7C: D3CD0030 1CC20D96
	v_mul_f32_e32 v130, s48, v130                              // 000000006F84: 0B050430
	v_mul_f32_e32 v131, s48, v131                              // 000000006F88: 0B070630
	v_mfma_f32_16x16x16_f16 v[48:51], a[152:153], a[8:9], v[48:51]// 000000006F8C: D3CD0030 1CC21198
	v_mul_f32_e32 v132, s48, v132                              // 000000006F94: 0B090830
	v_mul_f32_e32 v133, s48, v133                              // 000000006F98: 0B0B0A30
	v_mfma_f32_16x16x16_f16 v[48:51], a[154:155], a[10:11], v[48:51]// 000000006F9C: D3CD0030 1CC2159A
	v_mul_f32_e32 v134, s48, v134                              // 000000006FA4: 0B0D0C30
	v_mul_f32_e32 v135, s48, v135                              // 000000006FA8: 0B0F0E30
	v_mfma_f32_16x16x16_f16 v[48:51], a[156:157], a[12:13], v[48:51]// 000000006FAC: D3CD0030 1CC2199C
	v_cvt_pkrtz_f16_f32 v128, v128, v129                       // 000000006FB4: D2960080 00030380
	v_cvt_pkrtz_f16_f32 v129, v130, v131                       // 000000006FBC: D2960081 00030782
	v_mfma_f32_16x16x16_f16 v[48:51], a[158:159], a[14:15], v[48:51]// 000000006FC4: D3CD0030 1CC21D9E
	v_cvt_pkrtz_f16_f32 v130, v132, v133                       // 000000006FCC: D2960082 00030B84
	v_cvt_pkrtz_f16_f32 v131, v134, v135                       // 000000006FD4: D2960083 00030F86
	v_mfma_f32_16x16x16_f16 v[52:55], a[144:145], a[16:17], 0  // 000000006FDC: D3CD0034 1A022190
	ds_write_b64 v20, v[128:129] offset:24320                  // 000000006FE4: D89A5F00 00008014
	v_mfma_f32_16x16x16_f16 v[52:55], a[146:147], a[18:19], v[52:55]// 000000006FEC: D3CD0034 1CD22592
	v_mfma_f32_16x16x16_f16 v[52:55], a[148:149], a[20:21], v[52:55]// 000000006FF4: D3CD0034 1CD22994
	ds_write_b64 v20, v[130:131] offset:24864                  // 000000006FFC: D89A6120 00008214
	v_mfma_f32_16x16x16_f16 v[52:55], a[150:151], a[22:23], v[52:55]// 000000007004: D3CD0034 1CD22D96
	v_mfma_f32_16x16x16_f16 v[52:55], a[152:153], a[24:25], v[52:55]// 00000000700C: D3CD0034 1CD23198
	ds_read_b128 v[108:111], v12 offset:13056                  // 000000007014: D9FE3300 6C00000C
	ds_write_b32 v11, v32                                      // 00000000701C: D81A0000 0000200B
	v_mfma_f32_16x16x16_f16 v[52:55], a[154:155], a[26:27], v[52:55]// 000000007024: D3CD0034 1CD2359A
	v_mfma_f32_16x16x16_f16 v[52:55], a[156:157], a[28:29], v[52:55]// 00000000702C: D3CD0034 1CD2399C
	v_mfma_f32_16x16x16_f16 v[52:55], a[158:159], a[30:31], v[52:55]// 000000007034: D3CD0034 1CD23D9E
	ds_read_b128 v[112:115], v12 offset:13568                  // 00000000703C: D9FE3500 7000000C
	ds_write_b32 v11, v33 offset:1056                          // 000000007044: D81A0420 0000210B
	v_mfma_f32_16x16x16_f16 v[56:59], a[144:145], a[32:33], 0  // 00000000704C: D3CD0038 1A024190
	v_mfma_f32_16x16x16_f16 v[56:59], a[146:147], a[34:35], v[56:59]// 000000007054: D3CD0038 1CE24592
	v_mfma_f32_16x16x16_f16 v[56:59], a[148:149], a[36:37], v[56:59]// 00000000705C: D3CD0038 1CE24994
	ds_read_b128 v[116:119], v12 offset:15232                  // 000000007064: D9FE3B80 7400000C
	ds_write_b32 v11, v34 offset:128                           // 00000000706C: D81A0080 0000220B
	v_mfma_f32_16x16x16_f16 v[56:59], a[150:151], a[38:39], v[56:59]// 000000007074: D3CD0038 1CE24D96
	v_mfma_f32_16x16x16_f16 v[56:59], a[152:153], a[40:41], v[56:59]// 00000000707C: D3CD0038 1CE25198
	v_mfma_f32_16x16x16_f16 v[56:59], a[154:155], a[42:43], v[56:59]// 000000007084: D3CD0038 1CE2559A
	ds_read_b128 v[120:123], v12 offset:15744                  // 00000000708C: D9FE3D80 7800000C
	ds_write_b32 v11, v35 offset:1184                          // 000000007094: D81A04A0 0000230B
	v_mfma_f32_16x16x16_f16 v[56:59], a[156:157], a[44:45], v[56:59]// 00000000709C: D3CD0038 1CE2599C
	v_mfma_f32_16x16x16_f16 v[56:59], a[158:159], a[46:47], v[56:59]// 0000000070A4: D3CD0038 1CE25D9E
	s_cmp_lt_i32 s74, 12                                       // 0000000070AC: BF048C4A
	s_cbranch_scc0 label_0D22                                  // 0000000070B0: BF840075
	s_mov_b32 s60, 0xffe0fffe                                  // 0000000070B4: BEBC00FF FFE0FFFE
	s_mov_b32 s61, 0xe000fe00                                  // 0000000070BC: BEBD00FF E000FE00
	s_nop 0                                                    // 0000000070C4: BF800000
	s_add_u32 s62, 0, s47                                      // 0000000070C8: 803E2F80
	s_cmp_lt_i32 s74, s62                                      // 0000000070CC: BF043E4A
	s_cbranch_scc1 label_0CDD                                  // 0000000070D0: BF850028
	s_cmp_eq_i32 s74, s62                                      // 0000000070D4: BF003E4A
	s_cbranch_scc1 label_0CC2                                  // 0000000070D8: BF85000B
	s_add_u32 s62, 4, s47                                      // 0000000070DC: 803E2F84
	s_cmp_lt_i32 s74, s62                                      // 0000000070E0: BF043E4A
	s_cbranch_scc1 label_0CFD                                  // 0000000070E4: BF850043
	s_cmp_eq_i32 s74, s62                                      // 0000000070E8: BF003E4A
	s_cbranch_scc1 label_0CE2                                  // 0000000070EC: BF850026
	s_add_u32 s62, 8, s47                                      // 0000000070F0: 803E2F88
	s_cmp_lt_i32 s74, s62                                      // 0000000070F4: BF043E4A
	s_cbranch_scc1 label_0D1D                                  // 0000000070F8: BF85005E
	s_cmp_eq_i32 s74, s62                                      // 0000000070FC: BF003E4A
	s_cbranch_scc1 label_0D02                                  // 000000007100: BF850041
	s_branch label_0D22                                        // 000000007104: BF820060

0000000000007108 <label_0CC2>:
	v_cndmask_b32_e64 v48, v48, v151, s[60:61]                 // 000000007108: D1000030 00F32F30
	s_lshl_b32 s60, s60, 1                                     // 000000007110: 8E3C813C
	s_lshl_b32 s61, s61, 1                                     // 000000007114: 8E3D813D
	s_and_b32 s60, 0xfffeffff, s60                             // 000000007118: 863C3CFF FFFEFFFF
	s_and_b32 s61, 0xfffeffff, s61                             // 000000007120: 863D3DFF FFFEFFFF
	v_cndmask_b32_e64 v49, v49, v151, s[60:61]                 // 000000007128: D1000031 00F32F31
	s_lshl_b32 s60, s60, 1                                     // 000000007130: 8E3C813C
	s_lshl_b32 s61, s61, 1                                     // 000000007134: 8E3D813D
	s_and_b32 s60, 0xfffeffff, s60                             // 000000007138: 863C3CFF FFFEFFFF
	s_and_b32 s61, 0xfffeffff, s61                             // 000000007140: 863D3DFF FFFEFFFF
	v_cndmask_b32_e64 v50, v50, v151, s[60:61]                 // 000000007148: D1000032 00F32F32
	s_lshl_b32 s60, s60, 1                                     // 000000007150: 8E3C813C
	s_lshl_b32 s61, s61, 1                                     // 000000007154: 8E3D813D
	s_and_b32 s60, 0xfffeffff, s60                             // 000000007158: 863C3CFF FFFEFFFF
	s_and_b32 s61, 0xfffeffff, s61                             // 000000007160: 863D3DFF FFFEFFFF
	v_cndmask_b32_e64 v51, v51, v151, s[60:61]                 // 000000007168: D1000033 00F32F33
	s_branch label_0CFD                                        // 000000007170: BF820020

0000000000007174 <label_0CDD>:
	v_mov_b32_e32 v48, v151                                    // 000000007174: 7E600397
	v_mov_b32_e32 v49, v151                                    // 000000007178: 7E620397
	v_mov_b32_e32 v50, v151                                    // 00000000717C: 7E640397
	v_mov_b32_e32 v51, v151                                    // 000000007180: 7E660397
	s_branch label_0CFD                                        // 000000007184: BF82001B

0000000000007188 <label_0CE2>:
	v_cndmask_b32_e64 v52, v52, v151, s[60:61]                 // 000000007188: D1000034 00F32F34
	s_lshl_b32 s60, s60, 1                                     // 000000007190: 8E3C813C
	s_lshl_b32 s61, s61, 1                                     // 000000007194: 8E3D813D
	s_and_b32 s60, 0xfffeffff, s60                             // 000000007198: 863C3CFF FFFEFFFF
	s_and_b32 s61, 0xfffeffff, s61                             // 0000000071A0: 863D3DFF FFFEFFFF
	v_cndmask_b32_e64 v53, v53, v151, s[60:61]                 // 0000000071A8: D1000035 00F32F35
	s_lshl_b32 s60, s60, 1                                     // 0000000071B0: 8E3C813C
	s_lshl_b32 s61, s61, 1                                     // 0000000071B4: 8E3D813D
	s_and_b32 s60, 0xfffeffff, s60                             // 0000000071B8: 863C3CFF FFFEFFFF
	s_and_b32 s61, 0xfffeffff, s61                             // 0000000071C0: 863D3DFF FFFEFFFF
	v_cndmask_b32_e64 v54, v54, v151, s[60:61]                 // 0000000071C8: D1000036 00F32F36
	s_lshl_b32 s60, s60, 1                                     // 0000000071D0: 8E3C813C
	s_lshl_b32 s61, s61, 1                                     // 0000000071D4: 8E3D813D
	s_and_b32 s60, 0xfffeffff, s60                             // 0000000071D8: 863C3CFF FFFEFFFF
	s_and_b32 s61, 0xfffeffff, s61                             // 0000000071E0: 863D3DFF FFFEFFFF
	v_cndmask_b32_e64 v55, v55, v151, s[60:61]                 // 0000000071E8: D1000037 00F32F37
	s_branch label_0D1D                                        // 0000000071F0: BF820020

00000000000071f4 <label_0CFD>:
	v_mov_b32_e32 v52, v151                                    // 0000000071F4: 7E680397
	v_mov_b32_e32 v53, v151                                    // 0000000071F8: 7E6A0397
	v_mov_b32_e32 v54, v151                                    // 0000000071FC: 7E6C0397
	v_mov_b32_e32 v55, v151                                    // 000000007200: 7E6E0397
	s_branch label_0D1D                                        // 000000007204: BF82001B

0000000000007208 <label_0D02>:
	v_cndmask_b32_e64 v56, v56, v151, s[60:61]                 // 000000007208: D1000038 00F32F38
	s_lshl_b32 s60, s60, 1                                     // 000000007210: 8E3C813C
	s_lshl_b32 s61, s61, 1                                     // 000000007214: 8E3D813D
	s_and_b32 s60, 0xfffeffff, s60                             // 000000007218: 863C3CFF FFFEFFFF
	s_and_b32 s61, 0xfffeffff, s61                             // 000000007220: 863D3DFF FFFEFFFF
	v_cndmask_b32_e64 v57, v57, v151, s[60:61]                 // 000000007228: D1000039 00F32F39
	s_lshl_b32 s60, s60, 1                                     // 000000007230: 8E3C813C
	s_lshl_b32 s61, s61, 1                                     // 000000007234: 8E3D813D
	s_and_b32 s60, 0xfffeffff, s60                             // 000000007238: 863C3CFF FFFEFFFF
	s_and_b32 s61, 0xfffeffff, s61                             // 000000007240: 863D3DFF FFFEFFFF
	v_cndmask_b32_e64 v58, v58, v151, s[60:61]                 // 000000007248: D100003A 00F32F3A
	s_lshl_b32 s60, s60, 1                                     // 000000007250: 8E3C813C
	s_lshl_b32 s61, s61, 1                                     // 000000007254: 8E3D813D
	s_and_b32 s60, 0xfffeffff, s60                             // 000000007258: 863C3CFF FFFEFFFF
	s_and_b32 s61, 0xfffeffff, s61                             // 000000007260: 863D3DFF FFFEFFFF
	v_cndmask_b32_e64 v59, v59, v151, s[60:61]                 // 000000007268: D100003B 00F32F3B
	s_branch label_0D22                                        // 000000007270: BF820005

0000000000007274 <label_0D1D>:
	v_mov_b32_e32 v56, v151                                    // 000000007274: 7E700397
	v_mov_b32_e32 v57, v151                                    // 000000007278: 7E720397
	v_mov_b32_e32 v58, v151                                    // 00000000727C: 7E740397
	v_mov_b32_e32 v59, v151                                    // 000000007280: 7E760397
	s_branch label_0D22                                        // 000000007284: BF820000

0000000000007288 <label_0D22>:
	s_addk_i32 s74, 0x1                                        // 000000007288: B74A0001
	s_waitcnt lgkmcnt(8)                                       // 00000000728C: BF8CC87F
	s_barrier                                                  // 000000007290: BF8A0000
	v_mfma_f32_16x16x16_f16 v[72:75], v[92:93], a[96:97], 0    // 000000007294: D3CD0048 1202C15C
	ds_read_b128 a[144:147], v12 offset:4352                   // 00000000729C: DBFE1100 9000000C
	ds_read_b128 a[148:151], v12 offset:4864                   // 0000000072A4: DBFE1300 9400000C
	v_mfma_f32_16x16x16_f16 v[72:75], v[94:95], a[98:99], v[72:75]// 0000000072AC: D3CD0048 1522C55E
	v_fma_f32 v48, v48, s57, -v124                             // 0000000072B4: D1CB0030 85F07330
	v_fma_f32 v49, v49, s57, -v125                             // 0000000072BC: D1CB0031 85F47331
	v_fma_f32 v50, v50, s57, -v126                             // 0000000072C4: D1CB0032 85F87332
	v_mfma_f32_16x16x16_f16 v[72:75], v[96:97], a[100:101], v[72:75]// 0000000072CC: D3CD0048 1522C960
	v_fma_f32 v51, v51, s57, -v127                             // 0000000072D4: D1CB0033 85FC7333
	v_fma_f32 v52, v52, s57, -v124                             // 0000000072DC: D1CB0034 85F07334
	v_fma_f32 v53, v53, s57, -v125                             // 0000000072E4: D1CB0035 85F47335
	v_mfma_f32_16x16x16_f16 v[72:75], v[98:99], a[102:103], v[72:75]// 0000000072EC: D3CD0048 1522CD62
	v_fma_f32 v54, v54, s57, -v126                             // 0000000072F4: D1CB0036 85F87336
	v_fma_f32 v55, v55, s57, -v127                             // 0000000072FC: D1CB0037 85FC7337
	v_fma_f32 v56, v56, s57, -v124                             // 000000007304: D1CB0038 85F07338
	v_mfma_f32_16x16x16_f16 v[72:75], v[100:101], a[104:105], v[72:75]// 00000000730C: D3CD0048 1522D164
	ds_read_b128 a[152:155], v12 offset:6528                   // 000000007314: DBFE1980 9800000C
	ds_read_b128 a[156:159], v12 offset:7040                   // 00000000731C: DBFE1B80 9C00000C
	v_mfma_f32_16x16x16_f16 v[72:75], v[102:103], a[106:107], v[72:75]// 000000007324: D3CD0048 1522D566
	v_fma_f32 v57, v57, s57, -v125                             // 00000000732C: D1CB0039 85F47339
	v_fma_f32 v58, v58, s57, -v126                             // 000000007334: D1CB003A 85F8733A
	v_fma_f32 v59, v59, s57, -v127                             // 00000000733C: D1CB003B 85FC733B
	v_mfma_f32_16x16x16_f16 v[72:75], v[104:105], a[108:109], v[72:75]// 000000007344: D3CD0048 1522D968
	v_exp_f32_e32 v48, v48                                     // 00000000734C: 7E604130
	v_mfma_f32_16x16x16_f16 v[72:75], v[106:107], a[110:111], v[72:75]// 000000007350: D3CD0048 1522DD6A
	v_exp_f32_e32 v49, v49                                     // 000000007358: 7E624131
	v_mfma_f32_16x16x16_f16 v[76:79], v[92:93], a[112:113], 0  // 00000000735C: D3CD004C 1202E15C
	ds_read_b32 v136, v19 offset:24320                         // 000000007364: D86C5F00 88000013
	ds_read_b32 v137, v19 offset:24336                         // 00000000736C: D86C5F10 89000013
	v_mfma_f32_16x16x16_f16 v[76:79], v[94:95], a[114:115], v[76:79]// 000000007374: D3CD004C 1532E55E
	v_exp_f32_e32 v50, v50                                     // 00000000737C: 7E644132
	v_mfma_f32_16x16x16_f16 v[76:79], v[96:97], a[116:117], v[76:79]// 000000007380: D3CD004C 1532E960
	ds_read_b32 v138, v19 offset:26496                         // 000000007388: D86C6780 8A000013
	ds_read_b32 v139, v19 offset:26512                         // 000000007390: D86C6790 8B000013
	v_mfma_f32_16x16x16_f16 v[76:79], v[98:99], a[118:119], v[76:79]// 000000007398: D3CD004C 1532ED62
	v_exp_f32_e32 v51, v51                                     // 0000000073A0: 7E664133
	v_mfma_f32_16x16x16_f16 v[76:79], v[100:101], a[120:121], v[76:79]// 0000000073A4: D3CD004C 1532F164
	v_exp_f32_e32 v52, v52                                     // 0000000073AC: 7E684134
	v_mfma_f32_16x16x16_f16 v[76:79], v[102:103], a[122:123], v[76:79]// 0000000073B0: D3CD004C 1532F566
	v_exp_f32_e32 v53, v53                                     // 0000000073B8: 7E6A4135
	v_mfma_f32_16x16x16_f16 v[76:79], v[104:105], a[124:125], v[76:79]// 0000000073BC: D3CD004C 1532F968
	v_exp_f32_e32 v54, v54                                     // 0000000073C4: 7E6C4136
	v_mfma_f32_16x16x16_f16 v[76:79], v[106:107], a[126:127], v[76:79]// 0000000073C8: D3CD004C 1532FD6A
	v_exp_f32_e32 v55, v55                                     // 0000000073D0: 7E6E4137
	v_mfma_f32_16x16x16_f16 v[80:83], v[92:93], a[128:129], 0  // 0000000073D4: D3CD0050 1203015C
	v_exp_f32_e32 v56, v56                                     // 0000000073DC: 7E704138
	v_mfma_f32_16x16x16_f16 v[80:83], v[94:95], a[130:131], v[80:83]// 0000000073E0: D3CD0050 1543055E
	v_exp_f32_e32 v57, v57                                     // 0000000073E8: 7E724139
	v_mfma_f32_16x16x16_f16 v[80:83], v[96:97], a[132:133], v[80:83]// 0000000073EC: D3CD0050 15430960
	v_exp_f32_e32 v58, v58                                     // 0000000073F4: 7E74413A
	v_mfma_f32_16x16x16_f16 v[80:83], v[98:99], a[134:135], v[80:83]// 0000000073F8: D3CD0050 15430D62
	v_exp_f32_e32 v59, v59                                     // 000000007400: 7E76413B
	v_mfma_f32_16x16x16_f16 v[80:83], v[100:101], a[136:137], v[80:83]// 000000007404: D3CD0050 15431164
	v_cvt_pkrtz_f16_f32 v144, v48, v49                         // 00000000740C: D2960090 00026330
	v_cvt_pkrtz_f16_f32 v145, v50, v51                         // 000000007414: D2960091 00026732
	v_cvt_pkrtz_f16_f32 v146, v52, v53                         // 00000000741C: D2960092 00026B34
	v_mfma_f32_16x16x16_f16 v[80:83], v[102:103], a[138:139], v[80:83]// 000000007424: D3CD0050 15431566
	v_cvt_pkrtz_f16_f32 v147, v54, v55                         // 00000000742C: D2960093 00026F36
	v_cvt_pkrtz_f16_f32 v148, v56, v57                         // 000000007434: D2960094 00027338
	v_cvt_pkrtz_f16_f32 v149, v58, v59                         // 00000000743C: D2960095 0002773A
	v_mfma_f32_16x16x16_f16 v[80:83], v[104:105], a[140:141], v[80:83]// 000000007444: D3CD0050 15431968
	s_add_u32 s32, s66, s32                                    // 00000000744C: 80202042
	s_addc_u32 s33, 0, s33                                     // 000000007450: 82212180
	v_mfma_f32_16x16x16_f16 v[80:83], v[106:107], a[142:143], v[80:83]// 000000007454: D3CD0050 15431D6A
	s_waitcnt lgkmcnt(0)                                       // 00000000745C: BF8CC07F
	s_barrier                                                  // 000000007460: BF8A0000
	v_mfma_f32_16x16x16_f16 v[152:155], v[108:109], v[144:145], v[152:155]// 000000007464: D3CD0098 0663216C
	v_subrev_f32_dpp v72, v150, v72 quad_perm:[0,0,0,0] row_mask:0xf bank_mask:0xf// 00000000746C: 069090FA FF000096
	v_subrev_f32_dpp v73, v150, v73 quad_perm:[1,1,1,1] row_mask:0xf bank_mask:0xf// 000000007474: 069292FA FF005596
	v_subrev_f32_dpp v74, v150, v74 quad_perm:[2,2,2,2] row_mask:0xf bank_mask:0xf// 00000000747C: 069494FA FF00AA96
	v_mfma_f32_16x16x16_f16 v[156:159], v[110:111], v[144:145], v[156:159]// 000000007484: D3CD009C 0673216E
	v_subrev_f32_dpp v75, v150, v75 quad_perm:[3,3,3,3] row_mask:0xf bank_mask:0xf// 00000000748C: 069696FA FF00FF96
	v_subrev_f32_dpp v76, v150, v76 quad_perm:[0,0,0,0] row_mask:0xf bank_mask:0xf// 000000007494: 069898FA FF000096
	v_subrev_f32_dpp v77, v150, v77 quad_perm:[1,1,1,1] row_mask:0xf bank_mask:0xf// 00000000749C: 069A9AFA FF005596
	v_mfma_f32_16x16x16_f16 v[160:163], v[112:113], v[144:145], v[160:163]// 0000000074A4: D3CD00A0 06832170
	v_mul_f32_e32 v72, v48, v72                                // 0000000074AC: 0A909130
	v_mul_f32_e32 v73, v49, v73                                // 0000000074B0: 0A929331
	v_mul_f32_e32 v74, v50, v74                                // 0000000074B4: 0A949532
	v_mfma_f32_16x16x16_f16 v[164:167], v[114:115], v[144:145], v[164:167]// 0000000074B8: D3CD00A4 06932172
	v_mul_f32_e32 v75, v51, v75                                // 0000000074C0: 0A969733
	v_mul_f32_e32 v76, v52, v76                                // 0000000074C4: 0A989934
	v_mul_f32_e32 v77, v53, v77                                // 0000000074C8: 0A9A9B35
	v_mfma_f32_16x16x16_f16 v[168:171], v[116:117], v[144:145], v[168:171]// 0000000074CC: D3CD00A8 06A32174
	v_cvt_pkrtz_f16_f32 v72, v72, v73                          // 0000000074D4: D2960048 00029348
	v_cvt_pkrtz_f16_f32 v73, v74, v75                          // 0000000074DC: D2960049 0002974A
	v_cvt_pkrtz_f16_f32 v74, v76, v77                          // 0000000074E4: D296004A 00029B4C
	v_mfma_f32_16x16x16_f16 v[172:175], v[118:119], v[144:145], v[172:175]// 0000000074EC: D3CD00AC 06B32176
	v_mov_b32_dpp v16, v72 quad_perm:[1,0,3,2] row_mask:0xf bank_mask:0xf// 0000000074F4: 7E2002FA FF00B148
	v_perm_b32 v48, v16, v72, v15                              // 0000000074FC: D1ED0030 043E9110
	v_mov_b32_dpp v16, v73 quad_perm:[1,0,3,2] row_mask:0xf bank_mask:0xf// 000000007504: 7E2002FA FF00B149
	v_mfma_f32_16x16x16_f16 v[176:179], v[120:121], v[144:145], v[176:179]// 00000000750C: D3CD00B0 06C32178
	v_perm_b32 v49, v16, v73, v15                              // 000000007514: D1ED0031 043E9310
	v_mov_b32_dpp v16, v74 quad_perm:[1,0,3,2] row_mask:0xf bank_mask:0xf// 00000000751C: 7E2002FA FF00B14A
	v_perm_b32 v50, v16, v74, v15                              // 000000007524: D1ED0032 043E9510
	v_mfma_f32_16x16x16_f16 v[180:183], v[122:123], v[144:145], v[180:183]// 00000000752C: D3CD00B4 06D3217A
	ds_write_b32 v18, v48 offset:17408                         // 000000007534: D81A4400 00003012
	v_mfma_f32_16x16x16_f16 v[184:187], v[108:109], v[146:147], v[184:187]// 00000000753C: D3CD00B8 06E3256C
	v_subrev_f32_dpp v78, v150, v78 quad_perm:[2,2,2,2] row_mask:0xf bank_mask:0xf// 000000007544: 069C9CFA FF00AA96
	v_subrev_f32_dpp v79, v150, v79 quad_perm:[3,3,3,3] row_mask:0xf bank_mask:0xf// 00000000754C: 069E9EFA FF00FF96
	v_subrev_f32_dpp v80, v150, v80 quad_perm:[0,0,0,0] row_mask:0xf bank_mask:0xf// 000000007554: 06A0A0FA FF000096
	v_mfma_f32_16x16x16_f16 v[188:191], v[110:111], v[146:147], v[188:191]// 00000000755C: D3CD00BC 06F3256E
	ds_write_b32 v18, v49 offset:17952                         // 000000007564: D81A4620 00003112
	v_mfma_f32_16x16x16_f16 v[192:195], v[112:113], v[146:147], v[192:195]// 00000000756C: D3CD00C0 07032570
	v_subrev_f32_dpp v81, v150, v81 quad_perm:[1,1,1,1] row_mask:0xf bank_mask:0xf// 000000007574: 06A2A2FA FF005596
	v_subrev_f32_dpp v82, v150, v82 quad_perm:[2,2,2,2] row_mask:0xf bank_mask:0xf// 00000000757C: 06A4A4FA FF00AA96
	v_subrev_f32_dpp v83, v150, v83 quad_perm:[3,3,3,3] row_mask:0xf bank_mask:0xf// 000000007584: 06A6A6FA FF00FF96
	v_mfma_f32_16x16x16_f16 v[196:199], v[114:115], v[146:147], v[196:199]// 00000000758C: D3CD00C4 07132572
	ds_write_b32 v18, v50 offset:19712                         // 000000007594: D81A4D00 00003212
	v_mfma_f32_16x16x16_f16 v[200:203], v[116:117], v[146:147], v[200:203]// 00000000759C: D3CD00C8 07232574
	v_mul_f32_e32 v78, v54, v78                                // 0000000075A4: 0A9C9D36
	v_mul_f32_e32 v79, v55, v79                                // 0000000075A8: 0A9E9F37
	v_mul_f32_e32 v80, v56, v80                                // 0000000075AC: 0AA0A138
	v_mfma_f32_16x16x16_f16 v[204:207], v[118:119], v[146:147], v[204:207]// 0000000075B0: D3CD00CC 07332576
	v_mul_f32_e32 v81, v57, v81                                // 0000000075B8: 0AA2A339
	v_mul_f32_e32 v82, v58, v82                                // 0000000075BC: 0AA4A53A
	v_mul_f32_e32 v83, v59, v83                                // 0000000075C0: 0AA6A73B
	v_mfma_f32_16x16x16_f16 v[208:211], v[120:121], v[146:147], v[208:211]// 0000000075C4: D3CD00D0 07432578
	v_cvt_pkrtz_f16_f32 v75, v78, v79                          // 0000000075CC: D296004B 00029F4E
	v_cvt_pkrtz_f16_f32 v76, v80, v81                          // 0000000075D4: D296004C 0002A350
	v_cvt_pkrtz_f16_f32 v77, v82, v83                          // 0000000075DC: D296004D 0002A752
	v_mfma_f32_16x16x16_f16 v[212:215], v[122:123], v[146:147], v[212:215]// 0000000075E4: D3CD00D4 0753257A
	v_mov_b32_dpp v16, v75 quad_perm:[1,0,3,2] row_mask:0xf bank_mask:0xf// 0000000075EC: 7E2002FA FF00B14B
	v_perm_b32 v51, v16, v75, v15                              // 0000000075F4: D1ED0033 043E9710
	v_mov_b32_dpp v16, v76 quad_perm:[1,0,3,2] row_mask:0xf bank_mask:0xf// 0000000075FC: 7E2002FA FF00B14C
	v_mfma_f32_16x16x16_f16 v[216:219], v[108:109], v[148:149], v[216:219]// 000000007604: D3CD00D8 0763296C
	v_perm_b32 v52, v16, v76, v15                              // 00000000760C: D1ED0034 043E9910
	v_mov_b32_dpp v16, v77 quad_perm:[1,0,3,2] row_mask:0xf bank_mask:0xf// 000000007614: 7E2002FA FF00B14D
	v_perm_b32 v53, v16, v77, v15                              // 00000000761C: D1ED0035 043E9B10
	v_mfma_f32_16x16x16_f16 v[220:223], v[110:111], v[148:149], v[220:223]// 000000007624: D3CD00DC 0773296E
	ds_write_b32 v18, v51 offset:20256                         // 00000000762C: D81A4F20 00003312
	v_mfma_f32_16x16x16_f16 v[224:227], v[112:113], v[148:149], v[224:227]// 000000007634: D3CD00E0 07832970
	v_mfma_f32_16x16x16_f16 v[228:231], v[114:115], v[148:149], v[228:231]// 00000000763C: D3CD00E4 07932972
	ds_write_b32 v18, v52 offset:22016                         // 000000007644: D81A5600 00003412
	ds_write_b32 v18, v53 offset:22560                         // 00000000764C: D81A5820 00003512
	v_mfma_f32_16x16x16_f16 v[232:235], v[116:117], v[148:149], v[232:235]// 000000007654: D3CD00E8 07A32974
	v_mfma_f32_16x16x16_f16 v[236:239], v[118:119], v[148:149], v[236:239]// 00000000765C: D3CD00EC 07B32976
	ds_write_b32 v13, v84 offset:4352                          // 000000007664: D81A1100 0000540D
	ds_write_b32 v13, v85 offset:5408                          // 00000000766C: D81A1520 0000550D
	v_mfma_f32_16x16x16_f16 v[240:243], v[120:121], v[148:149], v[240:243]// 000000007674: D3CD00F0 07C32978
	s_nop 0                                                    // 00000000767C: BF800000
	s_nop 0                                                    // 000000007680: BF800000
	s_nop 0                                                    // 000000007684: BF800000
	v_mfma_f32_16x16x16_f16 v[244:247], v[122:123], v[148:149], v[244:247]// 000000007688: D3CD00F4 07D3297A
	ds_write_b32 v13, v86 offset:4480                          // 000000007690: D81A1180 0000560D
	ds_write_b32 v13, v87 offset:5536                          // 000000007698: D81A15A0 0000570D
	s_barrier                                                  // 0000000076A0: BF8A0000
	v_mfma_f32_16x16x16_f16 a[160:163], a[144:145], v[72:73], a[160:163]// 0000000076A4: D3CD80A0 0E829190
	buffer_atomic_pk_add_f16 v136, v7, s[32:35], 0 idxen       // 0000000076AC: E1382000 80088807
	v_mfma_f32_16x16x16_f16 a[164:167], a[146:147], v[72:73], a[164:167]// 0000000076B4: D3CD80A4 0E929192
	ds_read_b32 v124, v21 offset:50688                         // 0000000076BC: D86CC600 7C000015
	ds_read_b32 v150, v21 offset:50944                         // 0000000076C4: D86CC700 96000015
	v_mfma_f32_16x16x16_f16 a[168:171], a[148:149], v[72:73], a[168:171]// 0000000076CC: D3CD80A8 0EA29194
	s_waitcnt lgkmcnt(6)                                       // 0000000076D4: BF8CC67F
	s_barrier                                                  // 0000000076D8: BF8A0000
	v_mfma_f32_16x16x16_f16 a[172:175], a[150:151], v[72:73], a[172:175]// 0000000076DC: D3CD80AC 0EB29196
	ds_read_b128 v[48:51], v17 offset:17408                    // 0000000076E4: D9FE4400 30000011
	v_mfma_f32_16x16x16_f16 a[176:179], a[152:153], v[72:73], a[176:179]// 0000000076EC: D3CD80B0 0EC29198
	v_mfma_f32_16x16x16_f16 a[180:183], a[154:155], v[72:73], a[180:183]// 0000000076F4: D3CD80B4 0ED2919A
	ds_read_b128 v[52:55], v17 offset:18560                    // 0000000076FC: D9FE4880 34000011
	v_mfma_f32_16x16x16_f16 a[184:187], a[156:157], v[72:73], a[184:187]// 000000007704: D3CD80B8 0EE2919C
	buffer_atomic_pk_add_f16 v137, v8, s[32:35], 0 idxen       // 00000000770C: E1382000 80088908
	v_mfma_f32_16x16x16_f16 a[188:191], a[158:159], v[72:73], a[188:191]// 000000007714: D3CD80BC 0EF2919E
	ds_read_b128 v[56:59], v17 offset:19712                    // 00000000771C: D9FE4D00 38000011
	v_mfma_f32_16x16x16_f16 a[192:195], a[144:145], v[74:75], a[192:195]// 000000007724: D3CD80C0 0F029590
	v_mfma_f32_16x16x16_f16 a[196:199], a[146:147], v[74:75], a[196:199]// 00000000772C: D3CD80C4 0F129592
	ds_read_b128 v[60:63], v17 offset:20864                    // 000000007734: D9FE5180 3C000011
	v_mfma_f32_16x16x16_f16 a[200:203], a[148:149], v[74:75], a[200:203]// 00000000773C: D3CD80C8 0F229594
	v_mfma_f32_16x16x16_f16 a[204:207], a[150:151], v[74:75], a[204:207]// 000000007744: D3CD80CC 0F329596
	ds_read_b128 v[64:67], v17 offset:22016                    // 00000000774C: D9FE5600 40000011
	v_mfma_f32_16x16x16_f16 a[208:211], a[152:153], v[74:75], a[208:211]// 000000007754: D3CD80D0 0F429598
	s_mov_b64 exec, s[96:97]                                   // 00000000775C: BEFE0160
	buffer_atomic_pk_add_f16 v138, v7, s[32:35], 0 idxen offset:128// 000000007760: E1382080 80088A07
	s_mov_b64 exec, s[90:91]                                   // 000000007768: BEFE015A
	v_mfma_f32_16x16x16_f16 a[212:215], a[154:155], v[74:75], a[212:215]// 00000000776C: D3CD80D4 0F52959A
	ds_read_b128 v[68:71], v17 offset:23168                    // 000000007774: D9FE5A80 44000011
	v_mfma_f32_16x16x16_f16 a[216:219], a[156:157], v[74:75], a[216:219]// 00000000777C: D3CD80D8 0F62959C
	v_mfma_f32_16x16x16_f16 a[220:223], a[158:159], v[74:75], a[220:223]// 000000007784: D3CD80DC 0F72959E
	ds_write_b32 v13, v88 offset:13056                         // 00000000778C: D81A3300 0000580D
	v_mfma_f32_16x16x16_f16 a[224:227], a[144:145], v[76:77], a[224:227]// 000000007794: D3CD80E0 0F829990
	v_mfma_f32_16x16x16_f16 a[228:231], a[146:147], v[76:77], a[228:231]// 00000000779C: D3CD80E4 0F929992
	ds_write_b32 v13, v89 offset:14112                         // 0000000077A4: D81A3720 0000590D
	v_mfma_f32_16x16x16_f16 a[232:235], a[148:149], v[76:77], a[232:235]// 0000000077AC: D3CD80E8 0FA29994
	s_mov_b64 exec, s[96:97]                                   // 0000000077B4: BEFE0160
	buffer_atomic_pk_add_f16 v139, v8, s[32:35], 0 idxen offset:128// 0000000077B8: E1382080 80088B08
	s_mov_b64 exec, s[90:91]                                   // 0000000077C0: BEFE015A
	v_mfma_f32_16x16x16_f16 a[236:239], a[150:151], v[76:77], a[236:239]// 0000000077C4: D3CD80EC 0FB29996
	ds_write_b32 v13, v90 offset:13184                         // 0000000077CC: D81A3380 00005A0D
	v_mfma_f32_16x16x16_f16 a[240:243], a[152:153], v[76:77], a[240:243]// 0000000077D4: D3CD80F0 0FC29998
	v_mfma_f32_16x16x16_f16 a[244:247], a[154:155], v[76:77], a[244:247]// 0000000077DC: D3CD80F4 0FD2999A
	ds_write_b32 v13, v91 offset:14240                         // 0000000077E4: D81A37A0 00005B0D
	v_mfma_f32_16x16x16_f16 a[248:251], a[156:157], v[76:77], a[248:251]// 0000000077EC: D3CD80F8 0FE2999C
	v_mfma_f32_16x16x16_f16 a[252:255], a[158:159], v[76:77], a[252:255]// 0000000077F4: D3CD80FC 0FF2999E
	s_waitcnt vmcnt(4) lgkmcnt(4)                              // 0000000077FC: BF8C0474
	s_barrier                                                  // 000000007800: BF8A0000
	v_mfma_f32_16x16x16_f16 v[128:131], a[48:49], v[48:49], 0  // 000000007804: D3CD0080 0A026130
	v_mul_f32_e32 v124, s49, v124                              // 00000000780C: 0AF8F831
	s_nop 0                                                    // 000000007810: BF800000
	v_mfma_f32_16x16x16_f16 v[128:131], a[52:53], v[50:51], v[128:131]// 000000007814: D3CD0080 0E026534
	ds_read_b128 a[144:147], v10                               // 00000000781C: DBFE0000 9000000A
	v_mov_b32_e32 v32, 0                                       // 000000007824: 7E400280
	s_mov_b64 exec, s[92:93]                                   // 000000007828: BEFE015C
	buffer_load_dword v32, v1, s[8:11], 0 idxen                // 00000000782C: E0502000 80022001
	s_mov_b64 exec, s[90:91]                                   // 000000007834: BEFE015A
	v_mfma_f32_16x16x16_f16 v[128:131], a[56:57], v[52:53], v[128:131]// 000000007838: D3CD0080 0E026938
	v_mfma_f32_16x16x16_f16 v[128:131], a[60:61], v[54:55], v[128:131]// 000000007840: D3CD0080 0E026D3C
	ds_read_b128 a[148:151], v10 offset:512                    // 000000007848: DBFE0200 9400000A
	v_mov_b32_e32 v33, 0                                       // 000000007850: 7E420280
	s_mov_b64 exec, s[92:93]                                   // 000000007854: BEFE015C
	buffer_load_dword v33, v2, s[8:11], 0 idxen                // 000000007858: E0502000 80022102
	s_mov_b64 exec, s[90:91]                                   // 000000007860: BEFE015A
	v_mfma_f32_16x16x16_f16 v[128:131], a[64:65], v[56:57], v[128:131]// 000000007864: D3CD0080 0E027140
	v_perm_b32 v84, v37, v36, s63                              // 00000000786C: D1ED0054 00FE4925
	v_perm_b32 v85, v37, v36, s64                              // 000000007874: D1ED0055 01024925
	v_mfma_f32_16x16x16_f16 v[128:131], a[68:69], v[58:59], v[128:131]// 00000000787C: D3CD0080 0E027544
	ds_read_b128 a[152:155], v10 offset:2176                   // 000000007884: DBFE0880 9800000A
	v_mov_b32_e32 v34, 0                                       // 00000000788C: 7E440280
	s_mov_b64 exec, s[92:93]                                   // 000000007890: BEFE015C
	buffer_load_dword v34, v3, s[8:11], 0 idxen                // 000000007894: E0502000 80022203
	s_mov_b64 exec, s[90:91]                                   // 00000000789C: BEFE015A
	v_mfma_f32_16x16x16_f16 v[128:131], a[72:73], v[60:61], v[128:131]// 0000000078A0: D3CD0080 0E027948
	v_perm_b32 v86, v39, v38, s63                              // 0000000078A8: D1ED0056 00FE4D27
	v_perm_b32 v87, v39, v38, s64                              // 0000000078B0: D1ED0057 01024D27
	v_mfma_f32_16x16x16_f16 v[128:131], a[76:77], v[62:63], v[128:131]// 0000000078B8: D3CD0080 0E027D4C
	ds_read_b128 a[156:159], v10 offset:2688                   // 0000000078C0: DBFE0A80 9C00000A
	v_mov_b32_e32 v35, 0                                       // 0000000078C8: 7E460280
	s_mov_b64 exec, s[92:93]                                   // 0000000078CC: BEFE015C
	buffer_load_dword v35, v4, s[8:11], 0 idxen                // 0000000078D0: E0502000 80022304
	s_mov_b64 exec, s[90:91]                                   // 0000000078D8: BEFE015A
	v_mfma_f32_16x16x16_f16 v[128:131], a[80:81], v[64:65], v[128:131]// 0000000078DC: D3CD0080 0E028150
	v_perm_b32 v88, v45, v44, s63                              // 0000000078E4: D1ED0058 00FE592D
	v_perm_b32 v89, v45, v44, s64                              // 0000000078EC: D1ED0059 0102592D
	v_mfma_f32_16x16x16_f16 v[128:131], a[84:85], v[66:67], v[128:131]// 0000000078F4: D3CD0080 0E028554
	ds_read_b128 v[92:95], v10 offset:8704                     // 0000000078FC: D9FE2200 5C00000A
	v_mov_b32_e32 v40, 0                                       // 000000007904: 7E500280
	s_mov_b64 exec, s[92:93]                                   // 000000007908: BEFE015C
	buffer_load_dword v40, v1, s[20:23], 0 idxen               // 00000000790C: E0502000 80052801
	s_mov_b64 exec, s[90:91]                                   // 000000007914: BEFE015A
	v_mfma_f32_16x16x16_f16 v[128:131], a[88:89], v[68:69], v[128:131]// 000000007918: D3CD0080 0E028958
	v_perm_b32 v90, v47, v46, s63                              // 000000007920: D1ED005A 00FE5D2F
	v_perm_b32 v91, v47, v46, s64                              // 000000007928: D1ED005B 01025D2F
	v_mfma_f32_16x16x16_f16 v[128:131], a[92:93], v[70:71], v[128:131]// 000000007930: D3CD0080 0E028D5C
	ds_read_b128 v[96:99], v10 offset:9216                     // 000000007938: D9FE2400 6000000A
	v_mov_b32_e32 v41, 0                                       // 000000007940: 7E520280
	s_mov_b64 exec, s[92:93]                                   // 000000007944: BEFE015C
	buffer_load_dword v41, v2, s[20:23], 0 idxen               // 000000007948: E0502000 80052902
	s_mov_b64 exec, s[90:91]                                   // 000000007950: BEFE015A
	v_mfma_f32_16x16x16_f16 v[132:135], a[50:51], v[48:49], 0  // 000000007954: D3CD0084 0A026132
	v_mov_b32_dpp v127, v124 quad_perm:[3,3,3,3] row_mask:0xf bank_mask:0xf// 00000000795C: 7EFE02FA FF00FF7C
	v_mov_b32_dpp v126, v124 quad_perm:[2,2,2,2] row_mask:0xf bank_mask:0xf// 000000007964: 7EFC02FA FF00AA7C
	v_mfma_f32_16x16x16_f16 v[132:135], a[54:55], v[50:51], v[132:135]// 00000000796C: D3CD0084 0E126536
	ds_read_b128 v[100:103], v10 offset:10880                  // 000000007974: D9FE2A80 6400000A
	v_mov_b32_e32 v42, 0                                       // 00000000797C: 7E540280
	s_mov_b64 exec, s[92:93]                                   // 000000007980: BEFE015C
	buffer_load_dword v42, v3, s[20:23], 0 idxen               // 000000007984: E0502000 80052A03
	s_mov_b64 exec, s[90:91]                                   // 00000000798C: BEFE015A
	v_mfma_f32_16x16x16_f16 v[132:135], a[58:59], v[52:53], v[132:135]// 000000007990: D3CD0084 0E12693A
	v_mov_b32_dpp v125, v124 quad_perm:[1,1,1,1] row_mask:0xf bank_mask:0xf// 000000007998: 7EFA02FA FF00557C
	v_mov_b32_dpp v124, v124 quad_perm:[0,0,0,0] row_mask:0xf bank_mask:0xf// 0000000079A0: 7EF802FA FF00007C
	s_add_u32 s60, 64, s59                                     // 0000000079A8: 803C3BC0
	v_mfma_f32_16x16x16_f16 v[132:135], a[62:63], v[54:55], v[132:135]// 0000000079AC: D3CD0084 0E126D3E
	ds_read_b128 v[104:107], v10 offset:11392                  // 0000000079B4: D9FE2C80 6800000A
	v_mov_b32_e32 v43, 0                                       // 0000000079BC: 7E560280
	s_mov_b64 exec, s[92:93]                                   // 0000000079C0: BEFE015C
	buffer_load_dword v43, v4, s[20:23], 0 idxen               // 0000000079C4: E0502000 80052B04
	s_mov_b64 exec, s[90:91]                                   // 0000000079CC: BEFE015A
	v_mfma_f32_16x16x16_f16 v[132:135], a[66:67], v[56:57], v[132:135]// 0000000079D0: D3CD0084 0E127142
	s_cmp_lt_u32 s60, s58                                      // 0000000079D8: BF0A3A3C
	s_cselect_b32 s68, s68, 0                                  // 0000000079DC: 85448044
	s_cselect_b32 s69, s69, 0                                  // 0000000079E0: 85458045
	v_mfma_f32_16x16x16_f16 v[132:135], a[70:71], v[58:59], v[132:135]// 0000000079E4: D3CD0084 0E127546
	buffer_load_dword v9, s[24:27], 0 idxen lds                // 0000000079EC: E0512000 80060009
	v_mfma_f32_16x16x16_f16 v[132:135], a[74:75], v[60:61], v[132:135]// 0000000079F4: D3CD0084 0E12794A
	s_add_u32 s8, s68, s8                                      // 0000000079FC: 80080844
	s_addc_u32 s9, 0, s9                                       // 000000007A00: 82090980
	v_mfma_f32_16x16x16_f16 v[132:135], a[78:79], v[62:63], v[132:135]// 000000007A04: D3CD0084 0E127D4E
	s_add_u32 s20, s68, s20                                    // 000000007A0C: 80141444
	s_addc_u32 s21, 0, s21                                     // 000000007A10: 82151580
	v_mfma_f32_16x16x16_f16 v[132:135], a[82:83], v[64:65], v[132:135]// 000000007A14: D3CD0084 0E128152
	s_mov_b32 m0, s79                                          // 000000007A1C: BEFC004F
	v_add_u32_e32 v9, s69, v9                                  // 000000007A20: 68121245
	v_mfma_f32_16x16x16_f16 v[132:135], a[86:87], v[66:67], v[132:135]// 000000007A24: D3CD0084 0E128556
	s_cmp_ge_u32 s59, s73                                      // 000000007A2C: BF09493B
	s_cselect_b32 s66, s67, s66                                // 000000007A30: 85424243
	v_mfma_f32_16x16x16_f16 v[132:135], a[90:91], v[68:69], v[132:135]// 000000007A34: D3CD0084 0E12895A
	s_addk_i32 s59, 0x10                                       // 000000007A3C: B73B0010
	s_nop 0                                                    // 000000007A40: BF800000
	s_cmp_lt_i32 s59, s58                                      // 000000007A44: BF043A3B
	v_mfma_f32_16x16x16_f16 v[132:135], a[94:95], v[70:71], v[132:135]// 000000007A48: D3CD0084 0E128D5E
	s_cbranch_scc0 label_0F16                                  // 000000007A50: BF840001
	s_branch label_0985                                        // 000000007A54: BF82FA6F

0000000000007a58 <label_0F16>:
	s_nop 0                                                    // 000000007A58: BF800000
	s_nop 0                                                    // 000000007A5C: BF800000
	s_nop 0                                                    // 000000007A60: BF800000
	s_nop 0                                                    // 000000007A64: BF800000
	s_nop 0                                                    // 000000007A68: BF800000
	s_nop 0                                                    // 000000007A6C: BF800000
	s_branch label_14AE                                        // 000000007A70: BF820591

0000000000007a74 <label_0F1D>:
	s_waitcnt lgkmcnt(4)                                       // 000000007A74: BF8CC47F
	s_barrier                                                  // 000000007A78: BF8A0000
	v_mfma_f32_16x16x16_f16 v[48:51], a[144:145], a[0:1], 0    // 000000007A7C: D3CD0030 1A020190
	v_mul_f32_e32 v128, s48, v128                              // 000000007A84: 0B010030
	v_mul_f32_e32 v129, s48, v129                              // 000000007A88: 0B030230
	v_mfma_f32_16x16x16_f16 v[48:51], a[146:147], a[2:3], v[48:51]// 000000007A8C: D3CD0030 1CC20592
	ds_write_b32 v11, v44 offset:8704                          // 000000007A94: D81A2200 00002C0B
	ds_write_b32 v11, v45 offset:9760                          // 000000007A9C: D81A2620 00002D0B
	v_mfma_f32_16x16x16_f16 v[48:51], a[148:149], a[4:5], v[48:51]// 000000007AA4: D3CD0030 1CC20994
	v_mul_f32_e32 v130, s48, v130                              // 000000007AAC: 0B050430
	v_mul_f32_e32 v131, s48, v131                              // 000000007AB0: 0B070630
	v_mfma_f32_16x16x16_f16 v[48:51], a[150:151], a[6:7], v[48:51]// 000000007AB4: D3CD0030 1CC20D96
	ds_write_b32 v11, v46 offset:8832                          // 000000007ABC: D81A2280 00002E0B
	ds_write_b32 v11, v47 offset:9888                          // 000000007AC4: D81A26A0 00002F0B
	v_mfma_f32_16x16x16_f16 v[48:51], a[152:153], a[8:9], v[48:51]// 000000007ACC: D3CD0030 1CC21198
	v_mul_f32_e32 v132, s48, v132                              // 000000007AD4: 0B090830
	v_mul_f32_e32 v133, s48, v133                              // 000000007AD8: 0B0B0A30
	v_mfma_f32_16x16x16_f16 v[48:51], a[154:155], a[10:11], v[48:51]// 000000007ADC: D3CD0030 1CC2159A
	v_mul_f32_e32 v134, s48, v134                              // 000000007AE4: 0B0D0C30
	v_mul_f32_e32 v135, s48, v135                              // 000000007AE8: 0B0F0E30
	v_mfma_f32_16x16x16_f16 v[48:51], a[156:157], a[12:13], v[48:51]// 000000007AEC: D3CD0030 1CC2199C
	v_cvt_pkrtz_f16_f32 v128, v128, v129                       // 000000007AF4: D2960080 00030380
	v_cvt_pkrtz_f16_f32 v129, v130, v131                       // 000000007AFC: D2960081 00030782
	v_mfma_f32_16x16x16_f16 v[48:51], a[158:159], a[14:15], v[48:51]// 000000007B04: D3CD0030 1CC21D9E
	v_cvt_pkrtz_f16_f32 v130, v132, v133                       // 000000007B0C: D2960082 00030B84
	v_cvt_pkrtz_f16_f32 v131, v134, v135                       // 000000007B14: D2960083 00030F86
	v_mfma_f32_16x16x16_f16 v[52:55], a[144:145], a[16:17], 0  // 000000007B1C: D3CD0034 1A022190
	v_mfma_f32_16x16x16_f16 v[52:55], a[146:147], a[18:19], v[52:55]// 000000007B24: D3CD0034 1CD22592
	ds_write_b64 v20, v[128:129] offset:24320                  // 000000007B2C: D89A5F00 00008014
	v_mfma_f32_16x16x16_f16 v[52:55], a[148:149], a[20:21], v[52:55]// 000000007B34: D3CD0034 1CD22994
	v_mfma_f32_16x16x16_f16 v[52:55], a[150:151], a[22:23], v[52:55]// 000000007B3C: D3CD0034 1CD22D96
	ds_write_b64 v20, v[130:131] offset:24864                  // 000000007B44: D89A6120 00008214
	v_mfma_f32_16x16x16_f16 v[52:55], a[152:153], a[24:25], v[52:55]// 000000007B4C: D3CD0034 1CD23198
	v_mfma_f32_16x16x16_f16 v[52:55], a[154:155], a[26:27], v[52:55]// 000000007B54: D3CD0034 1CD2359A
	ds_read_b128 v[108:111], v12 offset:13056                  // 000000007B5C: D9FE3300 6C00000C
	ds_write_b32 v11, v36                                      // 000000007B64: D81A0000 0000240B
	v_mfma_f32_16x16x16_f16 v[52:55], a[156:157], a[28:29], v[52:55]// 000000007B6C: D3CD0034 1CD2399C
	v_mfma_f32_16x16x16_f16 v[52:55], a[158:159], a[30:31], v[52:55]// 000000007B74: D3CD0034 1CD23D9E
	v_mfma_f32_16x16x16_f16 v[56:59], a[144:145], a[32:33], 0  // 000000007B7C: D3CD0038 1A024190
	ds_read_b128 v[112:115], v12 offset:13568                  // 000000007B84: D9FE3500 7000000C
	ds_write_b32 v11, v37 offset:1056                          // 000000007B8C: D81A0420 0000250B
	v_mfma_f32_16x16x16_f16 v[56:59], a[146:147], a[34:35], v[56:59]// 000000007B94: D3CD0038 1CE24592
	v_mfma_f32_16x16x16_f16 v[56:59], a[148:149], a[36:37], v[56:59]// 000000007B9C: D3CD0038 1CE24994
	v_mfma_f32_16x16x16_f16 v[56:59], a[150:151], a[38:39], v[56:59]// 000000007BA4: D3CD0038 1CE24D96
	ds_read_b128 v[116:119], v12 offset:15232                  // 000000007BAC: D9FE3B80 7400000C
	ds_write_b32 v11, v38 offset:128                           // 000000007BB4: D81A0080 0000260B
	v_mfma_f32_16x16x16_f16 v[56:59], a[152:153], a[40:41], v[56:59]// 000000007BBC: D3CD0038 1CE25198
	v_mfma_f32_16x16x16_f16 v[56:59], a[154:155], a[42:43], v[56:59]// 000000007BC4: D3CD0038 1CE2559A
	v_mfma_f32_16x16x16_f16 v[56:59], a[156:157], a[44:45], v[56:59]// 000000007BCC: D3CD0038 1CE2599C
	ds_read_b128 v[120:123], v12 offset:15744                  // 000000007BD4: D9FE3D80 7800000C
	ds_write_b32 v11, v39 offset:1184                          // 000000007BDC: D81A04A0 0000270B
	v_mfma_f32_16x16x16_f16 v[56:59], a[158:159], a[46:47], v[56:59]// 000000007BE4: D3CD0038 1CE25D9E
	s_cmp_lt_i32 s74, 12                                       // 000000007BEC: BF048C4A
	s_cbranch_scc0 label_0FF2                                  // 000000007BF0: BF840075
	s_mov_b32 s60, 0xffe0fffe                                  // 000000007BF4: BEBC00FF FFE0FFFE
	s_mov_b32 s61, 0xe000fe00                                  // 000000007BFC: BEBD00FF E000FE00
	s_nop 0                                                    // 000000007C04: BF800000
	s_add_u32 s62, 0, s47                                      // 000000007C08: 803E2F80
	s_cmp_lt_i32 s74, s62                                      // 000000007C0C: BF043E4A
	s_cbranch_scc1 label_0FAD                                  // 000000007C10: BF850028
	s_cmp_eq_i32 s74, s62                                      // 000000007C14: BF003E4A
	s_cbranch_scc1 label_0F92                                  // 000000007C18: BF85000B
	s_add_u32 s62, 4, s47                                      // 000000007C1C: 803E2F84
	s_cmp_lt_i32 s74, s62                                      // 000000007C20: BF043E4A
	s_cbranch_scc1 label_0FCD                                  // 000000007C24: BF850043
	s_cmp_eq_i32 s74, s62                                      // 000000007C28: BF003E4A
	s_cbranch_scc1 label_0FB2                                  // 000000007C2C: BF850026
	s_add_u32 s62, 8, s47                                      // 000000007C30: 803E2F88
	s_cmp_lt_i32 s74, s62                                      // 000000007C34: BF043E4A
	s_cbranch_scc1 label_0FED                                  // 000000007C38: BF85005E
	s_cmp_eq_i32 s74, s62                                      // 000000007C3C: BF003E4A
	s_cbranch_scc1 label_0FD2                                  // 000000007C40: BF850041
	s_branch label_0FF2                                        // 000000007C44: BF820060

0000000000007c48 <label_0F92>:
	v_cndmask_b32_e64 v48, v48, v151, s[60:61]                 // 000000007C48: D1000030 00F32F30
	s_lshl_b32 s60, s60, 1                                     // 000000007C50: 8E3C813C
	s_lshl_b32 s61, s61, 1                                     // 000000007C54: 8E3D813D
	s_and_b32 s60, 0xfffeffff, s60                             // 000000007C58: 863C3CFF FFFEFFFF
	s_and_b32 s61, 0xfffeffff, s61                             // 000000007C60: 863D3DFF FFFEFFFF
	v_cndmask_b32_e64 v49, v49, v151, s[60:61]                 // 000000007C68: D1000031 00F32F31
	s_lshl_b32 s60, s60, 1                                     // 000000007C70: 8E3C813C
	s_lshl_b32 s61, s61, 1                                     // 000000007C74: 8E3D813D
	s_and_b32 s60, 0xfffeffff, s60                             // 000000007C78: 863C3CFF FFFEFFFF
	s_and_b32 s61, 0xfffeffff, s61                             // 000000007C80: 863D3DFF FFFEFFFF
	v_cndmask_b32_e64 v50, v50, v151, s[60:61]                 // 000000007C88: D1000032 00F32F32
	s_lshl_b32 s60, s60, 1                                     // 000000007C90: 8E3C813C
	s_lshl_b32 s61, s61, 1                                     // 000000007C94: 8E3D813D
	s_and_b32 s60, 0xfffeffff, s60                             // 000000007C98: 863C3CFF FFFEFFFF
	s_and_b32 s61, 0xfffeffff, s61                             // 000000007CA0: 863D3DFF FFFEFFFF
	v_cndmask_b32_e64 v51, v51, v151, s[60:61]                 // 000000007CA8: D1000033 00F32F33
	s_branch label_0FCD                                        // 000000007CB0: BF820020

0000000000007cb4 <label_0FAD>:
	v_mov_b32_e32 v48, v151                                    // 000000007CB4: 7E600397
	v_mov_b32_e32 v49, v151                                    // 000000007CB8: 7E620397
	v_mov_b32_e32 v50, v151                                    // 000000007CBC: 7E640397
	v_mov_b32_e32 v51, v151                                    // 000000007CC0: 7E660397
	s_branch label_0FCD                                        // 000000007CC4: BF82001B

0000000000007cc8 <label_0FB2>:
	v_cndmask_b32_e64 v52, v52, v151, s[60:61]                 // 000000007CC8: D1000034 00F32F34
	s_lshl_b32 s60, s60, 1                                     // 000000007CD0: 8E3C813C
	s_lshl_b32 s61, s61, 1                                     // 000000007CD4: 8E3D813D
	s_and_b32 s60, 0xfffeffff, s60                             // 000000007CD8: 863C3CFF FFFEFFFF
	s_and_b32 s61, 0xfffeffff, s61                             // 000000007CE0: 863D3DFF FFFEFFFF
	v_cndmask_b32_e64 v53, v53, v151, s[60:61]                 // 000000007CE8: D1000035 00F32F35
	s_lshl_b32 s60, s60, 1                                     // 000000007CF0: 8E3C813C
	s_lshl_b32 s61, s61, 1                                     // 000000007CF4: 8E3D813D
	s_and_b32 s60, 0xfffeffff, s60                             // 000000007CF8: 863C3CFF FFFEFFFF
	s_and_b32 s61, 0xfffeffff, s61                             // 000000007D00: 863D3DFF FFFEFFFF
	v_cndmask_b32_e64 v54, v54, v151, s[60:61]                 // 000000007D08: D1000036 00F32F36
	s_lshl_b32 s60, s60, 1                                     // 000000007D10: 8E3C813C
	s_lshl_b32 s61, s61, 1                                     // 000000007D14: 8E3D813D
	s_and_b32 s60, 0xfffeffff, s60                             // 000000007D18: 863C3CFF FFFEFFFF
	s_and_b32 s61, 0xfffeffff, s61                             // 000000007D20: 863D3DFF FFFEFFFF
	v_cndmask_b32_e64 v55, v55, v151, s[60:61]                 // 000000007D28: D1000037 00F32F37
	s_branch label_0FED                                        // 000000007D30: BF820020

0000000000007d34 <label_0FCD>:
	v_mov_b32_e32 v52, v151                                    // 000000007D34: 7E680397
	v_mov_b32_e32 v53, v151                                    // 000000007D38: 7E6A0397
	v_mov_b32_e32 v54, v151                                    // 000000007D3C: 7E6C0397
	v_mov_b32_e32 v55, v151                                    // 000000007D40: 7E6E0397
	s_branch label_0FED                                        // 000000007D44: BF82001B

0000000000007d48 <label_0FD2>:
	v_cndmask_b32_e64 v56, v56, v151, s[60:61]                 // 000000007D48: D1000038 00F32F38
	s_lshl_b32 s60, s60, 1                                     // 000000007D50: 8E3C813C
	s_lshl_b32 s61, s61, 1                                     // 000000007D54: 8E3D813D
	s_and_b32 s60, 0xfffeffff, s60                             // 000000007D58: 863C3CFF FFFEFFFF
	s_and_b32 s61, 0xfffeffff, s61                             // 000000007D60: 863D3DFF FFFEFFFF
	v_cndmask_b32_e64 v57, v57, v151, s[60:61]                 // 000000007D68: D1000039 00F32F39
	s_lshl_b32 s60, s60, 1                                     // 000000007D70: 8E3C813C
	s_lshl_b32 s61, s61, 1                                     // 000000007D74: 8E3D813D
	s_and_b32 s60, 0xfffeffff, s60                             // 000000007D78: 863C3CFF FFFEFFFF
	s_and_b32 s61, 0xfffeffff, s61                             // 000000007D80: 863D3DFF FFFEFFFF
	v_cndmask_b32_e64 v58, v58, v151, s[60:61]                 // 000000007D88: D100003A 00F32F3A
	s_lshl_b32 s60, s60, 1                                     // 000000007D90: 8E3C813C
	s_lshl_b32 s61, s61, 1                                     // 000000007D94: 8E3D813D
	s_and_b32 s60, 0xfffeffff, s60                             // 000000007D98: 863C3CFF FFFEFFFF
	s_and_b32 s61, 0xfffeffff, s61                             // 000000007DA0: 863D3DFF FFFEFFFF
	v_cndmask_b32_e64 v59, v59, v151, s[60:61]                 // 000000007DA8: D100003B 00F32F3B
	s_branch label_0FF2                                        // 000000007DB0: BF820005

0000000000007db4 <label_0FED>:
	v_mov_b32_e32 v56, v151                                    // 000000007DB4: 7E700397
	v_mov_b32_e32 v57, v151                                    // 000000007DB8: 7E720397
	v_mov_b32_e32 v58, v151                                    // 000000007DBC: 7E740397
	v_mov_b32_e32 v59, v151                                    // 000000007DC0: 7E760397
	s_branch label_0FF2                                        // 000000007DC4: BF820000

0000000000007dc8 <label_0FF2>:
	s_addk_i32 s74, 0x1                                        // 000000007DC8: B74A0001
	s_waitcnt lgkmcnt(8)                                       // 000000007DCC: BF8CC87F
	s_barrier                                                  // 000000007DD0: BF8A0000
	v_mfma_f32_16x16x16_f16 v[72:75], v[92:93], a[96:97], 0    // 000000007DD4: D3CD0048 1202C15C
	v_fma_f32 v48, v48, s57, -v124                             // 000000007DDC: D1CB0030 85F07330
	v_fma_f32 v49, v49, s57, -v125                             // 000000007DE4: D1CB0031 85F47331
	v_fma_f32 v50, v50, s57, -v126                             // 000000007DEC: D1CB0032 85F87332
	v_mfma_f32_16x16x16_f16 v[72:75], v[94:95], a[98:99], v[72:75]// 000000007DF4: D3CD0048 1522C55E
	ds_read_b128 a[144:147], v12 offset:4352                   // 000000007DFC: DBFE1100 9000000C
	ds_read_b128 a[148:151], v12 offset:4864                   // 000000007E04: DBFE1300 9400000C
	v_mfma_f32_16x16x16_f16 v[72:75], v[96:97], a[100:101], v[72:75]// 000000007E0C: D3CD0048 1522C960
	v_fma_f32 v51, v51, s57, -v127                             // 000000007E14: D1CB0033 85FC7333
	v_fma_f32 v52, v52, s57, -v124                             // 000000007E1C: D1CB0034 85F07334
	v_fma_f32 v53, v53, s57, -v125                             // 000000007E24: D1CB0035 85F47335
	v_mfma_f32_16x16x16_f16 v[72:75], v[98:99], a[102:103], v[72:75]// 000000007E2C: D3CD0048 1522CD62
	v_fma_f32 v54, v54, s57, -v126                             // 000000007E34: D1CB0036 85F87336
	v_fma_f32 v55, v55, s57, -v127                             // 000000007E3C: D1CB0037 85FC7337
	v_fma_f32 v56, v56, s57, -v124                             // 000000007E44: D1CB0038 85F07338
	v_mfma_f32_16x16x16_f16 v[72:75], v[100:101], a[104:105], v[72:75]// 000000007E4C: D3CD0048 1522D164
	v_fma_f32 v57, v57, s57, -v125                             // 000000007E54: D1CB0039 85F47339
	v_fma_f32 v58, v58, s57, -v126                             // 000000007E5C: D1CB003A 85F8733A
	v_fma_f32 v59, v59, s57, -v127                             // 000000007E64: D1CB003B 85FC733B
	v_mfma_f32_16x16x16_f16 v[72:75], v[102:103], a[106:107], v[72:75]// 000000007E6C: D3CD0048 1522D566
	ds_read_b128 a[152:155], v12 offset:6528                   // 000000007E74: DBFE1980 9800000C
	ds_read_b128 a[156:159], v12 offset:7040                   // 000000007E7C: DBFE1B80 9C00000C
	v_mfma_f32_16x16x16_f16 v[72:75], v[104:105], a[108:109], v[72:75]// 000000007E84: D3CD0048 1522D968
	v_exp_f32_e32 v48, v48                                     // 000000007E8C: 7E604130
	v_mfma_f32_16x16x16_f16 v[72:75], v[106:107], a[110:111], v[72:75]// 000000007E90: D3CD0048 1522DD6A
	v_exp_f32_e32 v49, v49                                     // 000000007E98: 7E624131
	v_mfma_f32_16x16x16_f16 v[76:79], v[92:93], a[112:113], 0  // 000000007E9C: D3CD004C 1202E15C
	v_exp_f32_e32 v50, v50                                     // 000000007EA4: 7E644132
	v_mfma_f32_16x16x16_f16 v[76:79], v[94:95], a[114:115], v[76:79]// 000000007EA8: D3CD004C 1532E55E
	ds_read_b32 v136, v19 offset:24320                         // 000000007EB0: D86C5F00 88000013
	ds_read_b32 v137, v19 offset:24336                         // 000000007EB8: D86C5F10 89000013
	v_mfma_f32_16x16x16_f16 v[76:79], v[96:97], a[116:117], v[76:79]// 000000007EC0: D3CD004C 1532E960
	v_exp_f32_e32 v51, v51                                     // 000000007EC8: 7E664133
	v_mfma_f32_16x16x16_f16 v[76:79], v[98:99], a[118:119], v[76:79]// 000000007ECC: D3CD004C 1532ED62
	ds_read_b32 v138, v19 offset:26496                         // 000000007ED4: D86C6780 8A000013
	ds_read_b32 v139, v19 offset:26512                         // 000000007EDC: D86C6790 8B000013
	v_mfma_f32_16x16x16_f16 v[76:79], v[100:101], a[120:121], v[76:79]// 000000007EE4: D3CD004C 1532F164
	v_exp_f32_e32 v52, v52                                     // 000000007EEC: 7E684134
	v_mfma_f32_16x16x16_f16 v[76:79], v[102:103], a[122:123], v[76:79]// 000000007EF0: D3CD004C 1532F566
	v_exp_f32_e32 v53, v53                                     // 000000007EF8: 7E6A4135
	v_mfma_f32_16x16x16_f16 v[76:79], v[104:105], a[124:125], v[76:79]// 000000007EFC: D3CD004C 1532F968
	v_exp_f32_e32 v54, v54                                     // 000000007F04: 7E6C4136
	v_mfma_f32_16x16x16_f16 v[76:79], v[106:107], a[126:127], v[76:79]// 000000007F08: D3CD004C 1532FD6A
	v_exp_f32_e32 v55, v55                                     // 000000007F10: 7E6E4137
	v_mfma_f32_16x16x16_f16 v[80:83], v[92:93], a[128:129], 0  // 000000007F14: D3CD0050 1203015C
	v_exp_f32_e32 v56, v56                                     // 000000007F1C: 7E704138
	v_mfma_f32_16x16x16_f16 v[80:83], v[94:95], a[130:131], v[80:83]// 000000007F20: D3CD0050 1543055E
	v_exp_f32_e32 v57, v57                                     // 000000007F28: 7E724139
	v_mfma_f32_16x16x16_f16 v[80:83], v[96:97], a[132:133], v[80:83]// 000000007F2C: D3CD0050 15430960
	v_exp_f32_e32 v58, v58                                     // 000000007F34: 7E74413A
	v_mfma_f32_16x16x16_f16 v[80:83], v[98:99], a[134:135], v[80:83]// 000000007F38: D3CD0050 15430D62
	v_exp_f32_e32 v59, v59                                     // 000000007F40: 7E76413B
	v_mfma_f32_16x16x16_f16 v[80:83], v[100:101], a[136:137], v[80:83]// 000000007F44: D3CD0050 15431164
	v_cvt_pkrtz_f16_f32 v144, v48, v49                         // 000000007F4C: D2960090 00026330
	v_cvt_pkrtz_f16_f32 v145, v50, v51                         // 000000007F54: D2960091 00026732
	v_cvt_pkrtz_f16_f32 v146, v52, v53                         // 000000007F5C: D2960092 00026B34
	v_mfma_f32_16x16x16_f16 v[80:83], v[102:103], a[138:139], v[80:83]// 000000007F64: D3CD0050 15431566
	v_cvt_pkrtz_f16_f32 v147, v54, v55                         // 000000007F6C: D2960093 00026F36
	v_cvt_pkrtz_f16_f32 v148, v56, v57                         // 000000007F74: D2960094 00027338
	v_cvt_pkrtz_f16_f32 v149, v58, v59                         // 000000007F7C: D2960095 0002773A
	v_mfma_f32_16x16x16_f16 v[80:83], v[104:105], a[140:141], v[80:83]// 000000007F84: D3CD0050 15431968
	s_add_u32 s32, s66, s32                                    // 000000007F8C: 80202042
	s_addc_u32 s33, 0, s33                                     // 000000007F90: 82212180
	v_mfma_f32_16x16x16_f16 v[80:83], v[106:107], a[142:143], v[80:83]// 000000007F94: D3CD0050 15431D6A
	s_waitcnt lgkmcnt(0)                                       // 000000007F9C: BF8CC07F
	s_barrier                                                  // 000000007FA0: BF8A0000
	v_mfma_f32_16x16x16_f16 v[152:155], v[108:109], v[144:145], v[152:155]// 000000007FA4: D3CD0098 0663216C
	v_subrev_f32_dpp v72, v150, v72 quad_perm:[0,0,0,0] row_mask:0xf bank_mask:0xf// 000000007FAC: 069090FA FF000096
	v_subrev_f32_dpp v73, v150, v73 quad_perm:[1,1,1,1] row_mask:0xf bank_mask:0xf// 000000007FB4: 069292FA FF005596
	v_subrev_f32_dpp v74, v150, v74 quad_perm:[2,2,2,2] row_mask:0xf bank_mask:0xf// 000000007FBC: 069494FA FF00AA96
	v_mfma_f32_16x16x16_f16 v[156:159], v[110:111], v[144:145], v[156:159]// 000000007FC4: D3CD009C 0673216E
	v_subrev_f32_dpp v75, v150, v75 quad_perm:[3,3,3,3] row_mask:0xf bank_mask:0xf// 000000007FCC: 069696FA FF00FF96
	v_subrev_f32_dpp v76, v150, v76 quad_perm:[0,0,0,0] row_mask:0xf bank_mask:0xf// 000000007FD4: 069898FA FF000096
	v_subrev_f32_dpp v77, v150, v77 quad_perm:[1,1,1,1] row_mask:0xf bank_mask:0xf// 000000007FDC: 069A9AFA FF005596
	v_mfma_f32_16x16x16_f16 v[160:163], v[112:113], v[144:145], v[160:163]// 000000007FE4: D3CD00A0 06832170
	v_mul_f32_e32 v72, v48, v72                                // 000000007FEC: 0A909130
	v_mul_f32_e32 v73, v49, v73                                // 000000007FF0: 0A929331
	v_mul_f32_e32 v74, v50, v74                                // 000000007FF4: 0A949532
	v_mfma_f32_16x16x16_f16 v[164:167], v[114:115], v[144:145], v[164:167]// 000000007FF8: D3CD00A4 06932172
	v_mul_f32_e32 v75, v51, v75                                // 000000008000: 0A969733
	v_mul_f32_e32 v76, v52, v76                                // 000000008004: 0A989934
	v_mul_f32_e32 v77, v53, v77                                // 000000008008: 0A9A9B35
	v_mfma_f32_16x16x16_f16 v[168:171], v[116:117], v[144:145], v[168:171]// 00000000800C: D3CD00A8 06A32174
	v_cvt_pkrtz_f16_f32 v72, v72, v73                          // 000000008014: D2960048 00029348
	v_cvt_pkrtz_f16_f32 v73, v74, v75                          // 00000000801C: D2960049 0002974A
	v_cvt_pkrtz_f16_f32 v74, v76, v77                          // 000000008024: D296004A 00029B4C
	v_mfma_f32_16x16x16_f16 v[172:175], v[118:119], v[144:145], v[172:175]// 00000000802C: D3CD00AC 06B32176
	v_mov_b32_dpp v16, v72 quad_perm:[1,0,3,2] row_mask:0xf bank_mask:0xf// 000000008034: 7E2002FA FF00B148
	v_perm_b32 v48, v16, v72, v15                              // 00000000803C: D1ED0030 043E9110
	v_mov_b32_dpp v16, v73 quad_perm:[1,0,3,2] row_mask:0xf bank_mask:0xf// 000000008044: 7E2002FA FF00B149
	v_mfma_f32_16x16x16_f16 v[176:179], v[120:121], v[144:145], v[176:179]// 00000000804C: D3CD00B0 06C32178
	ds_write_b32 v18, v48 offset:17408                         // 000000008054: D81A4400 00003012
	v_mfma_f32_16x16x16_f16 v[180:183], v[122:123], v[144:145], v[180:183]// 00000000805C: D3CD00B4 06D3217A
	v_perm_b32 v49, v16, v73, v15                              // 000000008064: D1ED0031 043E9310
	v_mov_b32_dpp v16, v74 quad_perm:[1,0,3,2] row_mask:0xf bank_mask:0xf// 00000000806C: 7E2002FA FF00B14A
	v_perm_b32 v50, v16, v74, v15                              // 000000008074: D1ED0032 043E9510
	v_mfma_f32_16x16x16_f16 v[184:187], v[108:109], v[146:147], v[184:187]// 00000000807C: D3CD00B8 06E3256C
	ds_write_b32 v18, v49 offset:17952                         // 000000008084: D81A4620 00003112
	v_mfma_f32_16x16x16_f16 v[188:191], v[110:111], v[146:147], v[188:191]// 00000000808C: D3CD00BC 06F3256E
	v_subrev_f32_dpp v78, v150, v78 quad_perm:[2,2,2,2] row_mask:0xf bank_mask:0xf// 000000008094: 069C9CFA FF00AA96
	v_subrev_f32_dpp v79, v150, v79 quad_perm:[3,3,3,3] row_mask:0xf bank_mask:0xf// 00000000809C: 069E9EFA FF00FF96
	v_subrev_f32_dpp v80, v150, v80 quad_perm:[0,0,0,0] row_mask:0xf bank_mask:0xf// 0000000080A4: 06A0A0FA FF000096
	v_mfma_f32_16x16x16_f16 v[192:195], v[112:113], v[146:147], v[192:195]// 0000000080AC: D3CD00C0 07032570
	ds_write_b32 v18, v50 offset:19712                         // 0000000080B4: D81A4D00 00003212
	v_mfma_f32_16x16x16_f16 v[196:199], v[114:115], v[146:147], v[196:199]// 0000000080BC: D3CD00C4 07132572
	v_subrev_f32_dpp v81, v150, v81 quad_perm:[1,1,1,1] row_mask:0xf bank_mask:0xf// 0000000080C4: 06A2A2FA FF005596
	v_subrev_f32_dpp v82, v150, v82 quad_perm:[2,2,2,2] row_mask:0xf bank_mask:0xf// 0000000080CC: 06A4A4FA FF00AA96
	v_subrev_f32_dpp v83, v150, v83 quad_perm:[3,3,3,3] row_mask:0xf bank_mask:0xf// 0000000080D4: 06A6A6FA FF00FF96
	v_mfma_f32_16x16x16_f16 v[200:203], v[116:117], v[146:147], v[200:203]// 0000000080DC: D3CD00C8 07232574
	v_mul_f32_e32 v78, v54, v78                                // 0000000080E4: 0A9C9D36
	v_mul_f32_e32 v79, v55, v79                                // 0000000080E8: 0A9E9F37
	v_mul_f32_e32 v80, v56, v80                                // 0000000080EC: 0AA0A138
	v_mfma_f32_16x16x16_f16 v[204:207], v[118:119], v[146:147], v[204:207]// 0000000080F0: D3CD00CC 07332576
	v_mul_f32_e32 v81, v57, v81                                // 0000000080F8: 0AA2A339
	v_mul_f32_e32 v82, v58, v82                                // 0000000080FC: 0AA4A53A
	v_mul_f32_e32 v83, v59, v83                                // 000000008100: 0AA6A73B
	v_mfma_f32_16x16x16_f16 v[208:211], v[120:121], v[146:147], v[208:211]// 000000008104: D3CD00D0 07432578
	v_cvt_pkrtz_f16_f32 v75, v78, v79                          // 00000000810C: D296004B 00029F4E
	v_cvt_pkrtz_f16_f32 v76, v80, v81                          // 000000008114: D296004C 0002A350
	v_cvt_pkrtz_f16_f32 v77, v82, v83                          // 00000000811C: D296004D 0002A752
	v_mfma_f32_16x16x16_f16 v[212:215], v[122:123], v[146:147], v[212:215]// 000000008124: D3CD00D4 0753257A
	v_mov_b32_dpp v16, v75 quad_perm:[1,0,3,2] row_mask:0xf bank_mask:0xf// 00000000812C: 7E2002FA FF00B14B
	v_perm_b32 v51, v16, v75, v15                              // 000000008134: D1ED0033 043E9710
	v_mov_b32_dpp v16, v76 quad_perm:[1,0,3,2] row_mask:0xf bank_mask:0xf// 00000000813C: 7E2002FA FF00B14C
	v_mfma_f32_16x16x16_f16 v[216:219], v[108:109], v[148:149], v[216:219]// 000000008144: D3CD00D8 0763296C
	ds_write_b32 v18, v51 offset:20256                         // 00000000814C: D81A4F20 00003312
	v_mfma_f32_16x16x16_f16 v[220:223], v[110:111], v[148:149], v[220:223]// 000000008154: D3CD00DC 0773296E
	v_perm_b32 v52, v16, v76, v15                              // 00000000815C: D1ED0034 043E9910
	v_mov_b32_dpp v16, v77 quad_perm:[1,0,3,2] row_mask:0xf bank_mask:0xf// 000000008164: 7E2002FA FF00B14D
	v_perm_b32 v53, v16, v77, v15                              // 00000000816C: D1ED0035 043E9B10
	v_mfma_f32_16x16x16_f16 v[224:227], v[112:113], v[148:149], v[224:227]// 000000008174: D3CD00E0 07832970
	ds_write_b32 v18, v52 offset:22016                         // 00000000817C: D81A5600 00003412
	ds_write_b32 v18, v53 offset:22560                         // 000000008184: D81A5820 00003512
	v_mfma_f32_16x16x16_f16 v[228:231], v[114:115], v[148:149], v[228:231]// 00000000818C: D3CD00E4 07932972
	v_mfma_f32_16x16x16_f16 v[232:235], v[116:117], v[148:149], v[232:235]// 000000008194: D3CD00E8 07A32974
	ds_write_b32 v13, v84 offset:4352                          // 00000000819C: D81A1100 0000540D
	ds_write_b32 v13, v85 offset:5408                          // 0000000081A4: D81A1520 0000550D
	v_mfma_f32_16x16x16_f16 v[236:239], v[118:119], v[148:149], v[236:239]// 0000000081AC: D3CD00EC 07B32976
	v_mfma_f32_16x16x16_f16 v[240:243], v[120:121], v[148:149], v[240:243]// 0000000081B4: D3CD00F0 07C32978
	ds_write_b32 v13, v86 offset:4480                          // 0000000081BC: D81A1180 0000560D
	ds_write_b32 v13, v87 offset:5536                          // 0000000081C4: D81A15A0 0000570D
	v_mfma_f32_16x16x16_f16 v[244:247], v[122:123], v[148:149], v[244:247]// 0000000081CC: D3CD00F4 07D3297A
	s_nop 0                                                    // 0000000081D4: BF800000
	s_nop 0                                                    // 0000000081D8: BF800000
	s_nop 0                                                    // 0000000081DC: BF800000
	s_barrier                                                  // 0000000081E0: BF8A0000
	v_mfma_f32_16x16x16_f16 a[160:163], a[144:145], v[72:73], a[160:163]// 0000000081E4: D3CD80A0 0E829190
	ds_read_b32 v124, v21 offset:51200                         // 0000000081EC: D86CC800 7C000015
	ds_read_b32 v150, v21 offset:51456                         // 0000000081F4: D86CC900 96000015
	v_mfma_f32_16x16x16_f16 a[164:167], a[146:147], v[72:73], a[164:167]// 0000000081FC: D3CD80A4 0E929192
	buffer_atomic_pk_add_f16 v136, v7, s[32:35], 0 idxen       // 000000008204: E1382000 80088807
	v_mfma_f32_16x16x16_f16 a[168:171], a[148:149], v[72:73], a[168:171]// 00000000820C: D3CD80A8 0EA29194
	s_waitcnt lgkmcnt(6)                                       // 000000008214: BF8CC67F
	s_barrier                                                  // 000000008218: BF8A0000
	v_mfma_f32_16x16x16_f16 a[172:175], a[150:151], v[72:73], a[172:175]// 00000000821C: D3CD80AC 0EB29196
	v_mfma_f32_16x16x16_f16 a[176:179], a[152:153], v[72:73], a[176:179]// 000000008224: D3CD80B0 0EC29198
	ds_read_b128 v[48:51], v17 offset:17408                    // 00000000822C: D9FE4400 30000011
	v_mfma_f32_16x16x16_f16 a[180:183], a[154:155], v[72:73], a[180:183]// 000000008234: D3CD80B4 0ED2919A
	v_mfma_f32_16x16x16_f16 a[184:187], a[156:157], v[72:73], a[184:187]// 00000000823C: D3CD80B8 0EE2919C
	ds_read_b128 v[52:55], v17 offset:18560                    // 000000008244: D9FE4880 34000011
	v_mfma_f32_16x16x16_f16 a[188:191], a[158:159], v[72:73], a[188:191]// 00000000824C: D3CD80BC 0EF2919E
	buffer_atomic_pk_add_f16 v137, v8, s[32:35], 0 idxen       // 000000008254: E1382000 80088908
	v_mfma_f32_16x16x16_f16 a[192:195], a[144:145], v[74:75], a[192:195]// 00000000825C: D3CD80C0 0F029590
	ds_read_b128 v[56:59], v17 offset:19712                    // 000000008264: D9FE4D00 38000011
	v_mfma_f32_16x16x16_f16 a[196:199], a[146:147], v[74:75], a[196:199]// 00000000826C: D3CD80C4 0F129592
	v_mfma_f32_16x16x16_f16 a[200:203], a[148:149], v[74:75], a[200:203]// 000000008274: D3CD80C8 0F229594
	ds_read_b128 v[60:63], v17 offset:20864                    // 00000000827C: D9FE5180 3C000011
	v_mfma_f32_16x16x16_f16 a[204:207], a[150:151], v[74:75], a[204:207]// 000000008284: D3CD80CC 0F329596
	v_mfma_f32_16x16x16_f16 a[208:211], a[152:153], v[74:75], a[208:211]// 00000000828C: D3CD80D0 0F429598
	ds_read_b128 v[64:67], v17 offset:22016                    // 000000008294: D9FE5600 40000011
	v_mfma_f32_16x16x16_f16 a[212:215], a[154:155], v[74:75], a[212:215]// 00000000829C: D3CD80D4 0F52959A
	s_mov_b64 exec, s[96:97]                                   // 0000000082A4: BEFE0160
	buffer_atomic_pk_add_f16 v138, v7, s[32:35], 0 idxen offset:128// 0000000082A8: E1382080 80088A07
	s_mov_b64 exec, s[90:91]                                   // 0000000082B0: BEFE015A
	v_mfma_f32_16x16x16_f16 a[216:219], a[156:157], v[74:75], a[216:219]// 0000000082B4: D3CD80D8 0F62959C
	ds_read_b128 v[68:71], v17 offset:23168                    // 0000000082BC: D9FE5A80 44000011
	v_mfma_f32_16x16x16_f16 a[220:223], a[158:159], v[74:75], a[220:223]// 0000000082C4: D3CD80DC 0F72959E
	v_mfma_f32_16x16x16_f16 a[224:227], a[144:145], v[76:77], a[224:227]// 0000000082CC: D3CD80E0 0F829990
	ds_write_b32 v13, v88 offset:13056                         // 0000000082D4: D81A3300 0000580D
	v_mfma_f32_16x16x16_f16 a[228:231], a[146:147], v[76:77], a[228:231]// 0000000082DC: D3CD80E4 0F929992
	v_mfma_f32_16x16x16_f16 a[232:235], a[148:149], v[76:77], a[232:235]// 0000000082E4: D3CD80E8 0FA29994
	ds_write_b32 v13, v89 offset:14112                         // 0000000082EC: D81A3720 0000590D
	v_mfma_f32_16x16x16_f16 a[236:239], a[150:151], v[76:77], a[236:239]// 0000000082F4: D3CD80EC 0FB29996
	s_mov_b64 exec, s[96:97]                                   // 0000000082FC: BEFE0160
	buffer_atomic_pk_add_f16 v139, v8, s[32:35], 0 idxen offset:128// 000000008300: E1382080 80088B08
	s_mov_b64 exec, s[90:91]                                   // 000000008308: BEFE015A
	v_mfma_f32_16x16x16_f16 a[240:243], a[152:153], v[76:77], a[240:243]// 00000000830C: D3CD80F0 0FC29998
	ds_write_b32 v13, v90 offset:13184                         // 000000008314: D81A3380 00005A0D
	v_mfma_f32_16x16x16_f16 a[244:247], a[154:155], v[76:77], a[244:247]// 00000000831C: D3CD80F4 0FD2999A
	v_mfma_f32_16x16x16_f16 a[248:251], a[156:157], v[76:77], a[248:251]// 000000008324: D3CD80F8 0FE2999C
	ds_write_b32 v13, v91 offset:14240                         // 00000000832C: D81A37A0 00005B0D
	v_mfma_f32_16x16x16_f16 a[252:255], a[158:159], v[76:77], a[252:255]// 000000008334: D3CD80FC 0FF2999E
	s_waitcnt vmcnt(4) lgkmcnt(4)                              // 00000000833C: BF8C0474
	s_barrier                                                  // 000000008340: BF8A0000
	v_mfma_f32_16x16x16_f16 v[128:131], a[48:49], v[48:49], 0  // 000000008344: D3CD0080 0A026130
	ds_read_b128 a[144:147], v10                               // 00000000834C: DBFE0000 9000000A
	v_mov_b32_e32 v36, 0                                       // 000000008354: 7E480280
	s_mov_b64 exec, s[92:93]                                   // 000000008358: BEFE015C
	buffer_load_dword v36, v1, s[8:11], 0 idxen                // 00000000835C: E0502000 80022401
	s_mov_b64 exec, s[90:91]                                   // 000000008364: BEFE015A
	v_mfma_f32_16x16x16_f16 v[128:131], a[52:53], v[50:51], v[128:131]// 000000008368: D3CD0080 0E026534
	v_mul_f32_e32 v124, s49, v124                              // 000000008370: 0AF8F831
	s_nop 0                                                    // 000000008374: BF800000
	v_mfma_f32_16x16x16_f16 v[128:131], a[56:57], v[52:53], v[128:131]// 000000008378: D3CD0080 0E026938
	ds_read_b128 a[148:151], v10 offset:512                    // 000000008380: DBFE0200 9400000A
	v_mov_b32_e32 v37, 0                                       // 000000008388: 7E4A0280
	s_mov_b64 exec, s[92:93]                                   // 00000000838C: BEFE015C
	buffer_load_dword v37, v2, s[8:11], 0 idxen                // 000000008390: E0502000 80022502
	s_mov_b64 exec, s[90:91]                                   // 000000008398: BEFE015A
	v_mfma_f32_16x16x16_f16 v[128:131], a[60:61], v[54:55], v[128:131]// 00000000839C: D3CD0080 0E026D3C
	v_mfma_f32_16x16x16_f16 v[128:131], a[64:65], v[56:57], v[128:131]// 0000000083A4: D3CD0080 0E027140
	ds_read_b128 a[152:155], v10 offset:2176                   // 0000000083AC: DBFE0880 9800000A
	v_mov_b32_e32 v38, 0                                       // 0000000083B4: 7E4C0280
	s_mov_b64 exec, s[92:93]                                   // 0000000083B8: BEFE015C
	buffer_load_dword v38, v3, s[8:11], 0 idxen                // 0000000083BC: E0502000 80022603
	s_mov_b64 exec, s[90:91]                                   // 0000000083C4: BEFE015A
	v_mfma_f32_16x16x16_f16 v[128:131], a[68:69], v[58:59], v[128:131]// 0000000083C8: D3CD0080 0E027544
	v_perm_b32 v84, v33, v32, s63                              // 0000000083D0: D1ED0054 00FE4121
	v_perm_b32 v85, v33, v32, s64                              // 0000000083D8: D1ED0055 01024121
	v_mfma_f32_16x16x16_f16 v[128:131], a[72:73], v[60:61], v[128:131]// 0000000083E0: D3CD0080 0E027948
	ds_read_b128 a[156:159], v10 offset:2688                   // 0000000083E8: DBFE0A80 9C00000A
	v_mov_b32_e32 v39, 0                                       // 0000000083F0: 7E4E0280
	s_mov_b64 exec, s[92:93]                                   // 0000000083F4: BEFE015C
	buffer_load_dword v39, v4, s[8:11], 0 idxen                // 0000000083F8: E0502000 80022704
	s_mov_b64 exec, s[90:91]                                   // 000000008400: BEFE015A
	v_mfma_f32_16x16x16_f16 v[128:131], a[76:77], v[62:63], v[128:131]// 000000008404: D3CD0080 0E027D4C
	v_perm_b32 v86, v35, v34, s63                              // 00000000840C: D1ED0056 00FE4523
	v_perm_b32 v87, v35, v34, s64                              // 000000008414: D1ED0057 01024523
	v_mfma_f32_16x16x16_f16 v[128:131], a[80:81], v[64:65], v[128:131]// 00000000841C: D3CD0080 0E028150
	ds_read_b128 v[92:95], v10 offset:8704                     // 000000008424: D9FE2200 5C00000A
	v_mov_b32_e32 v44, 0                                       // 00000000842C: 7E580280
	s_mov_b64 exec, s[92:93]                                   // 000000008430: BEFE015C
	buffer_load_dword v44, v1, s[20:23], 0 idxen               // 000000008434: E0502000 80052C01
	s_mov_b64 exec, s[90:91]                                   // 00000000843C: BEFE015A
	v_mfma_f32_16x16x16_f16 v[128:131], a[84:85], v[66:67], v[128:131]// 000000008440: D3CD0080 0E028554
	v_perm_b32 v88, v41, v40, s63                              // 000000008448: D1ED0058 00FE5129
	v_perm_b32 v89, v41, v40, s64                              // 000000008450: D1ED0059 01025129
	v_mfma_f32_16x16x16_f16 v[128:131], a[88:89], v[68:69], v[128:131]// 000000008458: D3CD0080 0E028958
	ds_read_b128 v[96:99], v10 offset:9216                     // 000000008460: D9FE2400 6000000A
	v_mov_b32_e32 v45, 0                                       // 000000008468: 7E5A0280
	s_mov_b64 exec, s[92:93]                                   // 00000000846C: BEFE015C
	buffer_load_dword v45, v2, s[20:23], 0 idxen               // 000000008470: E0502000 80052D02
	s_mov_b64 exec, s[90:91]                                   // 000000008478: BEFE015A
	v_mfma_f32_16x16x16_f16 v[128:131], a[92:93], v[70:71], v[128:131]// 00000000847C: D3CD0080 0E028D5C
	v_perm_b32 v90, v43, v42, s63                              // 000000008484: D1ED005A 00FE552B
	v_perm_b32 v91, v43, v42, s64                              // 00000000848C: D1ED005B 0102552B
	v_mfma_f32_16x16x16_f16 v[132:135], a[50:51], v[48:49], 0  // 000000008494: D3CD0084 0A026132
	ds_read_b128 v[100:103], v10 offset:10880                  // 00000000849C: D9FE2A80 6400000A
	v_mov_b32_e32 v46, 0                                       // 0000000084A4: 7E5C0280
	s_mov_b64 exec, s[92:93]                                   // 0000000084A8: BEFE015C
	buffer_load_dword v46, v3, s[20:23], 0 idxen               // 0000000084AC: E0502000 80052E03
	s_mov_b64 exec, s[90:91]                                   // 0000000084B4: BEFE015A
	v_mfma_f32_16x16x16_f16 v[132:135], a[54:55], v[50:51], v[132:135]// 0000000084B8: D3CD0084 0E126536
	v_mov_b32_dpp v127, v124 quad_perm:[3,3,3,3] row_mask:0xf bank_mask:0xf// 0000000084C0: 7EFE02FA FF00FF7C
	v_mov_b32_dpp v126, v124 quad_perm:[2,2,2,2] row_mask:0xf bank_mask:0xf// 0000000084C8: 7EFC02FA FF00AA7C
	v_mfma_f32_16x16x16_f16 v[132:135], a[58:59], v[52:53], v[132:135]// 0000000084D0: D3CD0084 0E12693A
	ds_read_b128 v[104:107], v10 offset:11392                  // 0000000084D8: D9FE2C80 6800000A
	v_mov_b32_e32 v47, 0                                       // 0000000084E0: 7E5E0280
	s_mov_b64 exec, s[92:93]                                   // 0000000084E4: BEFE015C
	buffer_load_dword v47, v4, s[20:23], 0 idxen               // 0000000084E8: E0502000 80052F04
	s_mov_b64 exec, s[90:91]                                   // 0000000084F0: BEFE015A
	v_mfma_f32_16x16x16_f16 v[132:135], a[62:63], v[54:55], v[132:135]// 0000000084F4: D3CD0084 0E126D3E
	v_mov_b32_dpp v125, v124 quad_perm:[1,1,1,1] row_mask:0xf bank_mask:0xf// 0000000084FC: 7EFA02FA FF00557C
	v_mov_b32_dpp v124, v124 quad_perm:[0,0,0,0] row_mask:0xf bank_mask:0xf// 000000008504: 7EF802FA FF00007C
	s_add_u32 s60, 64, s59                                     // 00000000850C: 803C3BC0
	v_mfma_f32_16x16x16_f16 v[132:135], a[66:67], v[56:57], v[132:135]// 000000008510: D3CD0084 0E127142
	buffer_load_dword v9, s[24:27], 0 idxen lds                // 000000008518: E0512000 80060009
	v_mfma_f32_16x16x16_f16 v[132:135], a[70:71], v[58:59], v[132:135]// 000000008520: D3CD0084 0E127546
	s_cmp_lt_u32 s60, s58                                      // 000000008528: BF0A3A3C
	s_cselect_b32 s68, s68, 0                                  // 00000000852C: 85448044
	s_cselect_b32 s69, s69, 0                                  // 000000008530: 85458045
	v_mfma_f32_16x16x16_f16 v[132:135], a[74:75], v[60:61], v[132:135]// 000000008534: D3CD0084 0E12794A
	s_add_u32 s8, s68, s8                                      // 00000000853C: 80080844
	s_addc_u32 s9, 0, s9                                       // 000000008540: 82090980
	v_mfma_f32_16x16x16_f16 v[132:135], a[78:79], v[62:63], v[132:135]// 000000008544: D3CD0084 0E127D4E
	s_add_u32 s20, s68, s20                                    // 00000000854C: 80141444
	s_addc_u32 s21, 0, s21                                     // 000000008550: 82151580
	v_mfma_f32_16x16x16_f16 v[132:135], a[82:83], v[64:65], v[132:135]// 000000008554: D3CD0084 0E128152
	s_mov_b32 m0, s78                                          // 00000000855C: BEFC004E
	v_add_u32_e32 v9, s69, v9                                  // 000000008560: 68121245
	v_mfma_f32_16x16x16_f16 v[132:135], a[86:87], v[66:67], v[132:135]// 000000008564: D3CD0084 0E128556
	s_cmp_ge_u32 s59, s73                                      // 00000000856C: BF09493B
	s_cselect_b32 s66, s67, s66                                // 000000008570: 85424243
	v_mfma_f32_16x16x16_f16 v[132:135], a[90:91], v[68:69], v[132:135]// 000000008574: D3CD0084 0E12895A
	s_addk_i32 s59, 0x10                                       // 00000000857C: B73B0010
	s_nop 0                                                    // 000000008580: BF800000
	s_cmp_lt_i32 s59, s58                                      // 000000008584: BF043A3B
	v_mfma_f32_16x16x16_f16 v[132:135], a[94:95], v[70:71], v[132:135]// 000000008588: D3CD0084 0E128D5E
	s_cbranch_scc0 label_0F16                                  // 000000008590: BF84FD31
	s_waitcnt lgkmcnt(4)                                       // 000000008594: BF8CC47F
	s_barrier                                                  // 000000008598: BF8A0000
	v_mfma_f32_16x16x16_f16 v[48:51], a[144:145], a[0:1], 0    // 00000000859C: D3CD0030 1A020190
	v_mul_f32_e32 v128, s48, v128                              // 0000000085A4: 0B010030
	v_mul_f32_e32 v129, s48, v129                              // 0000000085A8: 0B030230
	v_mfma_f32_16x16x16_f16 v[48:51], a[146:147], a[2:3], v[48:51]// 0000000085AC: D3CD0030 1CC20592
	ds_write_b32 v11, v40 offset:8704                          // 0000000085B4: D81A2200 0000280B
	ds_write_b32 v11, v41 offset:9760                          // 0000000085BC: D81A2620 0000290B
	v_mfma_f32_16x16x16_f16 v[48:51], a[148:149], a[4:5], v[48:51]// 0000000085C4: D3CD0030 1CC20994
	v_mul_f32_e32 v130, s48, v130                              // 0000000085CC: 0B050430
	v_mul_f32_e32 v131, s48, v131                              // 0000000085D0: 0B070630
	v_mfma_f32_16x16x16_f16 v[48:51], a[150:151], a[6:7], v[48:51]// 0000000085D4: D3CD0030 1CC20D96
	ds_write_b32 v11, v42 offset:8832                          // 0000000085DC: D81A2280 00002A0B
	ds_write_b32 v11, v43 offset:9888                          // 0000000085E4: D81A26A0 00002B0B
	v_mfma_f32_16x16x16_f16 v[48:51], a[152:153], a[8:9], v[48:51]// 0000000085EC: D3CD0030 1CC21198
	v_mul_f32_e32 v132, s48, v132                              // 0000000085F4: 0B090830
	v_mul_f32_e32 v133, s48, v133                              // 0000000085F8: 0B0B0A30
	v_mfma_f32_16x16x16_f16 v[48:51], a[154:155], a[10:11], v[48:51]// 0000000085FC: D3CD0030 1CC2159A
	v_mul_f32_e32 v134, s48, v134                              // 000000008604: 0B0D0C30
	v_mul_f32_e32 v135, s48, v135                              // 000000008608: 0B0F0E30
	v_mfma_f32_16x16x16_f16 v[48:51], a[156:157], a[12:13], v[48:51]// 00000000860C: D3CD0030 1CC2199C
	v_cvt_pkrtz_f16_f32 v128, v128, v129                       // 000000008614: D2960080 00030380
	v_cvt_pkrtz_f16_f32 v129, v130, v131                       // 00000000861C: D2960081 00030782
	v_mfma_f32_16x16x16_f16 v[48:51], a[158:159], a[14:15], v[48:51]// 000000008624: D3CD0030 1CC21D9E
	v_cvt_pkrtz_f16_f32 v130, v132, v133                       // 00000000862C: D2960082 00030B84
	v_cvt_pkrtz_f16_f32 v131, v134, v135                       // 000000008634: D2960083 00030F86
	v_mfma_f32_16x16x16_f16 v[52:55], a[144:145], a[16:17], 0  // 00000000863C: D3CD0034 1A022190
	v_mfma_f32_16x16x16_f16 v[52:55], a[146:147], a[18:19], v[52:55]// 000000008644: D3CD0034 1CD22592
	ds_write_b64 v20, v[128:129] offset:24320                  // 00000000864C: D89A5F00 00008014
	v_mfma_f32_16x16x16_f16 v[52:55], a[148:149], a[20:21], v[52:55]// 000000008654: D3CD0034 1CD22994
	v_mfma_f32_16x16x16_f16 v[52:55], a[150:151], a[22:23], v[52:55]// 00000000865C: D3CD0034 1CD22D96
	ds_write_b64 v20, v[130:131] offset:24864                  // 000000008664: D89A6120 00008214
	v_mfma_f32_16x16x16_f16 v[52:55], a[152:153], a[24:25], v[52:55]// 00000000866C: D3CD0034 1CD23198
	v_mfma_f32_16x16x16_f16 v[52:55], a[154:155], a[26:27], v[52:55]// 000000008674: D3CD0034 1CD2359A
	ds_read_b128 v[108:111], v12 offset:13056                  // 00000000867C: D9FE3300 6C00000C
	ds_write_b32 v11, v32                                      // 000000008684: D81A0000 0000200B
	v_mfma_f32_16x16x16_f16 v[52:55], a[156:157], a[28:29], v[52:55]// 00000000868C: D3CD0034 1CD2399C
	v_mfma_f32_16x16x16_f16 v[52:55], a[158:159], a[30:31], v[52:55]// 000000008694: D3CD0034 1CD23D9E
	v_mfma_f32_16x16x16_f16 v[56:59], a[144:145], a[32:33], 0  // 00000000869C: D3CD0038 1A024190
	ds_read_b128 v[112:115], v12 offset:13568                  // 0000000086A4: D9FE3500 7000000C
	ds_write_b32 v11, v33 offset:1056                          // 0000000086AC: D81A0420 0000210B
	v_mfma_f32_16x16x16_f16 v[56:59], a[146:147], a[34:35], v[56:59]// 0000000086B4: D3CD0038 1CE24592
	v_mfma_f32_16x16x16_f16 v[56:59], a[148:149], a[36:37], v[56:59]// 0000000086BC: D3CD0038 1CE24994
	v_mfma_f32_16x16x16_f16 v[56:59], a[150:151], a[38:39], v[56:59]// 0000000086C4: D3CD0038 1CE24D96
	ds_read_b128 v[116:119], v12 offset:15232                  // 0000000086CC: D9FE3B80 7400000C
	ds_write_b32 v11, v34 offset:128                           // 0000000086D4: D81A0080 0000220B
	v_mfma_f32_16x16x16_f16 v[56:59], a[152:153], a[40:41], v[56:59]// 0000000086DC: D3CD0038 1CE25198
	v_mfma_f32_16x16x16_f16 v[56:59], a[154:155], a[42:43], v[56:59]// 0000000086E4: D3CD0038 1CE2559A
	v_mfma_f32_16x16x16_f16 v[56:59], a[156:157], a[44:45], v[56:59]// 0000000086EC: D3CD0038 1CE2599C
	ds_read_b128 v[120:123], v12 offset:15744                  // 0000000086F4: D9FE3D80 7800000C
	ds_write_b32 v11, v35 offset:1184                          // 0000000086FC: D81A04A0 0000230B
	v_mfma_f32_16x16x16_f16 v[56:59], a[158:159], a[46:47], v[56:59]// 000000008704: D3CD0038 1CE25D9E
	s_cmp_lt_i32 s74, 12                                       // 00000000870C: BF048C4A
	s_cbranch_scc0 label_12BA                                  // 000000008710: BF840075
	s_mov_b32 s60, 0xffe0fffe                                  // 000000008714: BEBC00FF FFE0FFFE
	s_mov_b32 s61, 0xe000fe00                                  // 00000000871C: BEBD00FF E000FE00
	s_nop 0                                                    // 000000008724: BF800000
	s_add_u32 s62, 0, s47                                      // 000000008728: 803E2F80
	s_cmp_lt_i32 s74, s62                                      // 00000000872C: BF043E4A
	s_cbranch_scc1 label_1275                                  // 000000008730: BF850028
	s_cmp_eq_i32 s74, s62                                      // 000000008734: BF003E4A
	s_cbranch_scc1 label_125A                                  // 000000008738: BF85000B
	s_add_u32 s62, 4, s47                                      // 00000000873C: 803E2F84
	s_cmp_lt_i32 s74, s62                                      // 000000008740: BF043E4A
	s_cbranch_scc1 label_1295                                  // 000000008744: BF850043
	s_cmp_eq_i32 s74, s62                                      // 000000008748: BF003E4A
	s_cbranch_scc1 label_127A                                  // 00000000874C: BF850026
	s_add_u32 s62, 8, s47                                      // 000000008750: 803E2F88
	s_cmp_lt_i32 s74, s62                                      // 000000008754: BF043E4A
	s_cbranch_scc1 label_12B5                                  // 000000008758: BF85005E
	s_cmp_eq_i32 s74, s62                                      // 00000000875C: BF003E4A
	s_cbranch_scc1 label_129A                                  // 000000008760: BF850041
	s_branch label_12BA                                        // 000000008764: BF820060

0000000000008768 <label_125A>:
	v_cndmask_b32_e64 v48, v48, v151, s[60:61]                 // 000000008768: D1000030 00F32F30
	s_lshl_b32 s60, s60, 1                                     // 000000008770: 8E3C813C
	s_lshl_b32 s61, s61, 1                                     // 000000008774: 8E3D813D
	s_and_b32 s60, 0xfffeffff, s60                             // 000000008778: 863C3CFF FFFEFFFF
	s_and_b32 s61, 0xfffeffff, s61                             // 000000008780: 863D3DFF FFFEFFFF
	v_cndmask_b32_e64 v49, v49, v151, s[60:61]                 // 000000008788: D1000031 00F32F31
	s_lshl_b32 s60, s60, 1                                     // 000000008790: 8E3C813C
	s_lshl_b32 s61, s61, 1                                     // 000000008794: 8E3D813D
	s_and_b32 s60, 0xfffeffff, s60                             // 000000008798: 863C3CFF FFFEFFFF
	s_and_b32 s61, 0xfffeffff, s61                             // 0000000087A0: 863D3DFF FFFEFFFF
	v_cndmask_b32_e64 v50, v50, v151, s[60:61]                 // 0000000087A8: D1000032 00F32F32
	s_lshl_b32 s60, s60, 1                                     // 0000000087B0: 8E3C813C
	s_lshl_b32 s61, s61, 1                                     // 0000000087B4: 8E3D813D
	s_and_b32 s60, 0xfffeffff, s60                             // 0000000087B8: 863C3CFF FFFEFFFF
	s_and_b32 s61, 0xfffeffff, s61                             // 0000000087C0: 863D3DFF FFFEFFFF
	v_cndmask_b32_e64 v51, v51, v151, s[60:61]                 // 0000000087C8: D1000033 00F32F33
	s_branch label_1295                                        // 0000000087D0: BF820020

00000000000087d4 <label_1275>:
	v_mov_b32_e32 v48, v151                                    // 0000000087D4: 7E600397
	v_mov_b32_e32 v49, v151                                    // 0000000087D8: 7E620397
	v_mov_b32_e32 v50, v151                                    // 0000000087DC: 7E640397
	v_mov_b32_e32 v51, v151                                    // 0000000087E0: 7E660397
	s_branch label_1295                                        // 0000000087E4: BF82001B

00000000000087e8 <label_127A>:
	v_cndmask_b32_e64 v52, v52, v151, s[60:61]                 // 0000000087E8: D1000034 00F32F34
	s_lshl_b32 s60, s60, 1                                     // 0000000087F0: 8E3C813C
	s_lshl_b32 s61, s61, 1                                     // 0000000087F4: 8E3D813D
	s_and_b32 s60, 0xfffeffff, s60                             // 0000000087F8: 863C3CFF FFFEFFFF
	s_and_b32 s61, 0xfffeffff, s61                             // 000000008800: 863D3DFF FFFEFFFF
	v_cndmask_b32_e64 v53, v53, v151, s[60:61]                 // 000000008808: D1000035 00F32F35
	s_lshl_b32 s60, s60, 1                                     // 000000008810: 8E3C813C
	s_lshl_b32 s61, s61, 1                                     // 000000008814: 8E3D813D
	s_and_b32 s60, 0xfffeffff, s60                             // 000000008818: 863C3CFF FFFEFFFF
	s_and_b32 s61, 0xfffeffff, s61                             // 000000008820: 863D3DFF FFFEFFFF
	v_cndmask_b32_e64 v54, v54, v151, s[60:61]                 // 000000008828: D1000036 00F32F36
	s_lshl_b32 s60, s60, 1                                     // 000000008830: 8E3C813C
	s_lshl_b32 s61, s61, 1                                     // 000000008834: 8E3D813D
	s_and_b32 s60, 0xfffeffff, s60                             // 000000008838: 863C3CFF FFFEFFFF
	s_and_b32 s61, 0xfffeffff, s61                             // 000000008840: 863D3DFF FFFEFFFF
	v_cndmask_b32_e64 v55, v55, v151, s[60:61]                 // 000000008848: D1000037 00F32F37
	s_branch label_12B5                                        // 000000008850: BF820020

0000000000008854 <label_1295>:
	v_mov_b32_e32 v52, v151                                    // 000000008854: 7E680397
	v_mov_b32_e32 v53, v151                                    // 000000008858: 7E6A0397
	v_mov_b32_e32 v54, v151                                    // 00000000885C: 7E6C0397
	v_mov_b32_e32 v55, v151                                    // 000000008860: 7E6E0397
	s_branch label_12B5                                        // 000000008864: BF82001B

0000000000008868 <label_129A>:
	v_cndmask_b32_e64 v56, v56, v151, s[60:61]                 // 000000008868: D1000038 00F32F38
	s_lshl_b32 s60, s60, 1                                     // 000000008870: 8E3C813C
	s_lshl_b32 s61, s61, 1                                     // 000000008874: 8E3D813D
	s_and_b32 s60, 0xfffeffff, s60                             // 000000008878: 863C3CFF FFFEFFFF
	s_and_b32 s61, 0xfffeffff, s61                             // 000000008880: 863D3DFF FFFEFFFF
	v_cndmask_b32_e64 v57, v57, v151, s[60:61]                 // 000000008888: D1000039 00F32F39
	s_lshl_b32 s60, s60, 1                                     // 000000008890: 8E3C813C
	s_lshl_b32 s61, s61, 1                                     // 000000008894: 8E3D813D
	s_and_b32 s60, 0xfffeffff, s60                             // 000000008898: 863C3CFF FFFEFFFF
	s_and_b32 s61, 0xfffeffff, s61                             // 0000000088A0: 863D3DFF FFFEFFFF
	v_cndmask_b32_e64 v58, v58, v151, s[60:61]                 // 0000000088A8: D100003A 00F32F3A
	s_lshl_b32 s60, s60, 1                                     // 0000000088B0: 8E3C813C
	s_lshl_b32 s61, s61, 1                                     // 0000000088B4: 8E3D813D
	s_and_b32 s60, 0xfffeffff, s60                             // 0000000088B8: 863C3CFF FFFEFFFF
	s_and_b32 s61, 0xfffeffff, s61                             // 0000000088C0: 863D3DFF FFFEFFFF
	v_cndmask_b32_e64 v59, v59, v151, s[60:61]                 // 0000000088C8: D100003B 00F32F3B
	s_branch label_12BA                                        // 0000000088D0: BF820005

00000000000088d4 <label_12B5>:
	v_mov_b32_e32 v56, v151                                    // 0000000088D4: 7E700397
	v_mov_b32_e32 v57, v151                                    // 0000000088D8: 7E720397
	v_mov_b32_e32 v58, v151                                    // 0000000088DC: 7E740397
	v_mov_b32_e32 v59, v151                                    // 0000000088E0: 7E760397
	s_branch label_12BA                                        // 0000000088E4: BF820000

00000000000088e8 <label_12BA>:
	s_addk_i32 s74, 0x1                                        // 0000000088E8: B74A0001
	s_waitcnt lgkmcnt(8)                                       // 0000000088EC: BF8CC87F
	s_barrier                                                  // 0000000088F0: BF8A0000
	v_mfma_f32_16x16x16_f16 v[72:75], v[92:93], a[96:97], 0    // 0000000088F4: D3CD0048 1202C15C
	v_fma_f32 v48, v48, s57, -v124                             // 0000000088FC: D1CB0030 85F07330
	v_fma_f32 v49, v49, s57, -v125                             // 000000008904: D1CB0031 85F47331
	v_fma_f32 v50, v50, s57, -v126                             // 00000000890C: D1CB0032 85F87332
	v_mfma_f32_16x16x16_f16 v[72:75], v[94:95], a[98:99], v[72:75]// 000000008914: D3CD0048 1522C55E
	ds_read_b128 a[144:147], v12 offset:4352                   // 00000000891C: DBFE1100 9000000C
	ds_read_b128 a[148:151], v12 offset:4864                   // 000000008924: DBFE1300 9400000C
	v_mfma_f32_16x16x16_f16 v[72:75], v[96:97], a[100:101], v[72:75]// 00000000892C: D3CD0048 1522C960
	v_fma_f32 v51, v51, s57, -v127                             // 000000008934: D1CB0033 85FC7333
	v_fma_f32 v52, v52, s57, -v124                             // 00000000893C: D1CB0034 85F07334
	v_fma_f32 v53, v53, s57, -v125                             // 000000008944: D1CB0035 85F47335
	v_mfma_f32_16x16x16_f16 v[72:75], v[98:99], a[102:103], v[72:75]// 00000000894C: D3CD0048 1522CD62
	v_fma_f32 v54, v54, s57, -v126                             // 000000008954: D1CB0036 85F87336
	v_fma_f32 v55, v55, s57, -v127                             // 00000000895C: D1CB0037 85FC7337
	v_fma_f32 v56, v56, s57, -v124                             // 000000008964: D1CB0038 85F07338
	v_mfma_f32_16x16x16_f16 v[72:75], v[100:101], a[104:105], v[72:75]// 00000000896C: D3CD0048 1522D164
	v_fma_f32 v57, v57, s57, -v125                             // 000000008974: D1CB0039 85F47339
	v_fma_f32 v58, v58, s57, -v126                             // 00000000897C: D1CB003A 85F8733A
	v_fma_f32 v59, v59, s57, -v127                             // 000000008984: D1CB003B 85FC733B
	v_mfma_f32_16x16x16_f16 v[72:75], v[102:103], a[106:107], v[72:75]// 00000000898C: D3CD0048 1522D566
	ds_read_b128 a[152:155], v12 offset:6528                   // 000000008994: DBFE1980 9800000C
	ds_read_b128 a[156:159], v12 offset:7040                   // 00000000899C: DBFE1B80 9C00000C
	v_mfma_f32_16x16x16_f16 v[72:75], v[104:105], a[108:109], v[72:75]// 0000000089A4: D3CD0048 1522D968
	v_exp_f32_e32 v48, v48                                     // 0000000089AC: 7E604130
	v_mfma_f32_16x16x16_f16 v[72:75], v[106:107], a[110:111], v[72:75]// 0000000089B0: D3CD0048 1522DD6A
	v_exp_f32_e32 v49, v49                                     // 0000000089B8: 7E624131
	v_mfma_f32_16x16x16_f16 v[76:79], v[92:93], a[112:113], 0  // 0000000089BC: D3CD004C 1202E15C
	v_exp_f32_e32 v50, v50                                     // 0000000089C4: 7E644132
	v_mfma_f32_16x16x16_f16 v[76:79], v[94:95], a[114:115], v[76:79]// 0000000089C8: D3CD004C 1532E55E
	ds_read_b32 v136, v19 offset:24320                         // 0000000089D0: D86C5F00 88000013
	ds_read_b32 v137, v19 offset:24336                         // 0000000089D8: D86C5F10 89000013
	v_mfma_f32_16x16x16_f16 v[76:79], v[96:97], a[116:117], v[76:79]// 0000000089E0: D3CD004C 1532E960
	v_exp_f32_e32 v51, v51                                     // 0000000089E8: 7E664133
	v_mfma_f32_16x16x16_f16 v[76:79], v[98:99], a[118:119], v[76:79]// 0000000089EC: D3CD004C 1532ED62
	ds_read_b32 v138, v19 offset:26496                         // 0000000089F4: D86C6780 8A000013
	ds_read_b32 v139, v19 offset:26512                         // 0000000089FC: D86C6790 8B000013
	v_mfma_f32_16x16x16_f16 v[76:79], v[100:101], a[120:121], v[76:79]// 000000008A04: D3CD004C 1532F164
	v_exp_f32_e32 v52, v52                                     // 000000008A0C: 7E684134
	v_mfma_f32_16x16x16_f16 v[76:79], v[102:103], a[122:123], v[76:79]// 000000008A10: D3CD004C 1532F566
	v_exp_f32_e32 v53, v53                                     // 000000008A18: 7E6A4135
	v_mfma_f32_16x16x16_f16 v[76:79], v[104:105], a[124:125], v[76:79]// 000000008A1C: D3CD004C 1532F968
	v_exp_f32_e32 v54, v54                                     // 000000008A24: 7E6C4136
	v_mfma_f32_16x16x16_f16 v[76:79], v[106:107], a[126:127], v[76:79]// 000000008A28: D3CD004C 1532FD6A
	v_exp_f32_e32 v55, v55                                     // 000000008A30: 7E6E4137
	v_mfma_f32_16x16x16_f16 v[80:83], v[92:93], a[128:129], 0  // 000000008A34: D3CD0050 1203015C
	v_exp_f32_e32 v56, v56                                     // 000000008A3C: 7E704138
	v_mfma_f32_16x16x16_f16 v[80:83], v[94:95], a[130:131], v[80:83]// 000000008A40: D3CD0050 1543055E
	v_exp_f32_e32 v57, v57                                     // 000000008A48: 7E724139
	v_mfma_f32_16x16x16_f16 v[80:83], v[96:97], a[132:133], v[80:83]// 000000008A4C: D3CD0050 15430960
	v_exp_f32_e32 v58, v58                                     // 000000008A54: 7E74413A
	v_mfma_f32_16x16x16_f16 v[80:83], v[98:99], a[134:135], v[80:83]// 000000008A58: D3CD0050 15430D62
	v_exp_f32_e32 v59, v59                                     // 000000008A60: 7E76413B
	v_mfma_f32_16x16x16_f16 v[80:83], v[100:101], a[136:137], v[80:83]// 000000008A64: D3CD0050 15431164
	v_cvt_pkrtz_f16_f32 v144, v48, v49                         // 000000008A6C: D2960090 00026330
	v_cvt_pkrtz_f16_f32 v145, v50, v51                         // 000000008A74: D2960091 00026732
	v_cvt_pkrtz_f16_f32 v146, v52, v53                         // 000000008A7C: D2960092 00026B34
	v_mfma_f32_16x16x16_f16 v[80:83], v[102:103], a[138:139], v[80:83]// 000000008A84: D3CD0050 15431566
	v_cvt_pkrtz_f16_f32 v147, v54, v55                         // 000000008A8C: D2960093 00026F36
	v_cvt_pkrtz_f16_f32 v148, v56, v57                         // 000000008A94: D2960094 00027338
	v_cvt_pkrtz_f16_f32 v149, v58, v59                         // 000000008A9C: D2960095 0002773A
	v_mfma_f32_16x16x16_f16 v[80:83], v[104:105], a[140:141], v[80:83]// 000000008AA4: D3CD0050 15431968
	s_add_u32 s32, s66, s32                                    // 000000008AAC: 80202042
	s_addc_u32 s33, 0, s33                                     // 000000008AB0: 82212180
	v_mfma_f32_16x16x16_f16 v[80:83], v[106:107], a[142:143], v[80:83]// 000000008AB4: D3CD0050 15431D6A
	s_waitcnt lgkmcnt(0)                                       // 000000008ABC: BF8CC07F
	s_barrier                                                  // 000000008AC0: BF8A0000
	v_mfma_f32_16x16x16_f16 v[152:155], v[108:109], v[144:145], v[152:155]// 000000008AC4: D3CD0098 0663216C
	v_subrev_f32_dpp v72, v150, v72 quad_perm:[0,0,0,0] row_mask:0xf bank_mask:0xf// 000000008ACC: 069090FA FF000096
	v_subrev_f32_dpp v73, v150, v73 quad_perm:[1,1,1,1] row_mask:0xf bank_mask:0xf// 000000008AD4: 069292FA FF005596
	v_subrev_f32_dpp v74, v150, v74 quad_perm:[2,2,2,2] row_mask:0xf bank_mask:0xf// 000000008ADC: 069494FA FF00AA96
	v_mfma_f32_16x16x16_f16 v[156:159], v[110:111], v[144:145], v[156:159]// 000000008AE4: D3CD009C 0673216E
	v_subrev_f32_dpp v75, v150, v75 quad_perm:[3,3,3,3] row_mask:0xf bank_mask:0xf// 000000008AEC: 069696FA FF00FF96
	v_subrev_f32_dpp v76, v150, v76 quad_perm:[0,0,0,0] row_mask:0xf bank_mask:0xf// 000000008AF4: 069898FA FF000096
	v_subrev_f32_dpp v77, v150, v77 quad_perm:[1,1,1,1] row_mask:0xf bank_mask:0xf// 000000008AFC: 069A9AFA FF005596
	v_mfma_f32_16x16x16_f16 v[160:163], v[112:113], v[144:145], v[160:163]// 000000008B04: D3CD00A0 06832170
	v_mul_f32_e32 v72, v48, v72                                // 000000008B0C: 0A909130
	v_mul_f32_e32 v73, v49, v73                                // 000000008B10: 0A929331
	v_mul_f32_e32 v74, v50, v74                                // 000000008B14: 0A949532
	v_mfma_f32_16x16x16_f16 v[164:167], v[114:115], v[144:145], v[164:167]// 000000008B18: D3CD00A4 06932172
	v_mul_f32_e32 v75, v51, v75                                // 000000008B20: 0A969733
	v_mul_f32_e32 v76, v52, v76                                // 000000008B24: 0A989934
	v_mul_f32_e32 v77, v53, v77                                // 000000008B28: 0A9A9B35
	v_mfma_f32_16x16x16_f16 v[168:171], v[116:117], v[144:145], v[168:171]// 000000008B2C: D3CD00A8 06A32174
	v_cvt_pkrtz_f16_f32 v72, v72, v73                          // 000000008B34: D2960048 00029348
	v_cvt_pkrtz_f16_f32 v73, v74, v75                          // 000000008B3C: D2960049 0002974A
	v_cvt_pkrtz_f16_f32 v74, v76, v77                          // 000000008B44: D296004A 00029B4C
	v_mfma_f32_16x16x16_f16 v[172:175], v[118:119], v[144:145], v[172:175]// 000000008B4C: D3CD00AC 06B32176
	v_mov_b32_dpp v16, v72 quad_perm:[1,0,3,2] row_mask:0xf bank_mask:0xf// 000000008B54: 7E2002FA FF00B148
	v_perm_b32 v48, v16, v72, v15                              // 000000008B5C: D1ED0030 043E9110
	v_mov_b32_dpp v16, v73 quad_perm:[1,0,3,2] row_mask:0xf bank_mask:0xf// 000000008B64: 7E2002FA FF00B149
	v_mfma_f32_16x16x16_f16 v[176:179], v[120:121], v[144:145], v[176:179]// 000000008B6C: D3CD00B0 06C32178
	ds_write_b32 v18, v48 offset:17408                         // 000000008B74: D81A4400 00003012
	v_mfma_f32_16x16x16_f16 v[180:183], v[122:123], v[144:145], v[180:183]// 000000008B7C: D3CD00B4 06D3217A
	v_perm_b32 v49, v16, v73, v15                              // 000000008B84: D1ED0031 043E9310
	v_mov_b32_dpp v16, v74 quad_perm:[1,0,3,2] row_mask:0xf bank_mask:0xf// 000000008B8C: 7E2002FA FF00B14A
	v_perm_b32 v50, v16, v74, v15                              // 000000008B94: D1ED0032 043E9510
	v_mfma_f32_16x16x16_f16 v[184:187], v[108:109], v[146:147], v[184:187]// 000000008B9C: D3CD00B8 06E3256C
	ds_write_b32 v18, v49 offset:17952                         // 000000008BA4: D81A4620 00003112
	v_mfma_f32_16x16x16_f16 v[188:191], v[110:111], v[146:147], v[188:191]// 000000008BAC: D3CD00BC 06F3256E
	v_subrev_f32_dpp v78, v150, v78 quad_perm:[2,2,2,2] row_mask:0xf bank_mask:0xf// 000000008BB4: 069C9CFA FF00AA96
	v_subrev_f32_dpp v79, v150, v79 quad_perm:[3,3,3,3] row_mask:0xf bank_mask:0xf// 000000008BBC: 069E9EFA FF00FF96
	v_subrev_f32_dpp v80, v150, v80 quad_perm:[0,0,0,0] row_mask:0xf bank_mask:0xf// 000000008BC4: 06A0A0FA FF000096
	v_mfma_f32_16x16x16_f16 v[192:195], v[112:113], v[146:147], v[192:195]// 000000008BCC: D3CD00C0 07032570
	ds_write_b32 v18, v50 offset:19712                         // 000000008BD4: D81A4D00 00003212
	v_mfma_f32_16x16x16_f16 v[196:199], v[114:115], v[146:147], v[196:199]// 000000008BDC: D3CD00C4 07132572
	v_subrev_f32_dpp v81, v150, v81 quad_perm:[1,1,1,1] row_mask:0xf bank_mask:0xf// 000000008BE4: 06A2A2FA FF005596
	v_subrev_f32_dpp v82, v150, v82 quad_perm:[2,2,2,2] row_mask:0xf bank_mask:0xf// 000000008BEC: 06A4A4FA FF00AA96
	v_subrev_f32_dpp v83, v150, v83 quad_perm:[3,3,3,3] row_mask:0xf bank_mask:0xf// 000000008BF4: 06A6A6FA FF00FF96
	v_mfma_f32_16x16x16_f16 v[200:203], v[116:117], v[146:147], v[200:203]// 000000008BFC: D3CD00C8 07232574
	v_mul_f32_e32 v78, v54, v78                                // 000000008C04: 0A9C9D36
	v_mul_f32_e32 v79, v55, v79                                // 000000008C08: 0A9E9F37
	v_mul_f32_e32 v80, v56, v80                                // 000000008C0C: 0AA0A138
	v_mfma_f32_16x16x16_f16 v[204:207], v[118:119], v[146:147], v[204:207]// 000000008C10: D3CD00CC 07332576
	v_mul_f32_e32 v81, v57, v81                                // 000000008C18: 0AA2A339
	v_mul_f32_e32 v82, v58, v82                                // 000000008C1C: 0AA4A53A
	v_mul_f32_e32 v83, v59, v83                                // 000000008C20: 0AA6A73B
	v_mfma_f32_16x16x16_f16 v[208:211], v[120:121], v[146:147], v[208:211]// 000000008C24: D3CD00D0 07432578
	v_cvt_pkrtz_f16_f32 v75, v78, v79                          // 000000008C2C: D296004B 00029F4E
	v_cvt_pkrtz_f16_f32 v76, v80, v81                          // 000000008C34: D296004C 0002A350
	v_cvt_pkrtz_f16_f32 v77, v82, v83                          // 000000008C3C: D296004D 0002A752
	v_mfma_f32_16x16x16_f16 v[212:215], v[122:123], v[146:147], v[212:215]// 000000008C44: D3CD00D4 0753257A
	v_mov_b32_dpp v16, v75 quad_perm:[1,0,3,2] row_mask:0xf bank_mask:0xf// 000000008C4C: 7E2002FA FF00B14B
	v_perm_b32 v51, v16, v75, v15                              // 000000008C54: D1ED0033 043E9710
	v_mov_b32_dpp v16, v76 quad_perm:[1,0,3,2] row_mask:0xf bank_mask:0xf// 000000008C5C: 7E2002FA FF00B14C
	v_mfma_f32_16x16x16_f16 v[216:219], v[108:109], v[148:149], v[216:219]// 000000008C64: D3CD00D8 0763296C
	ds_write_b32 v18, v51 offset:20256                         // 000000008C6C: D81A4F20 00003312
	v_mfma_f32_16x16x16_f16 v[220:223], v[110:111], v[148:149], v[220:223]// 000000008C74: D3CD00DC 0773296E
	v_perm_b32 v52, v16, v76, v15                              // 000000008C7C: D1ED0034 043E9910
	v_mov_b32_dpp v16, v77 quad_perm:[1,0,3,2] row_mask:0xf bank_mask:0xf// 000000008C84: 7E2002FA FF00B14D
	v_perm_b32 v53, v16, v77, v15                              // 000000008C8C: D1ED0035 043E9B10
	v_mfma_f32_16x16x16_f16 v[224:227], v[112:113], v[148:149], v[224:227]// 000000008C94: D3CD00E0 07832970
	ds_write_b32 v18, v52 offset:22016                         // 000000008C9C: D81A5600 00003412
	ds_write_b32 v18, v53 offset:22560                         // 000000008CA4: D81A5820 00003512
	v_mfma_f32_16x16x16_f16 v[228:231], v[114:115], v[148:149], v[228:231]// 000000008CAC: D3CD00E4 07932972
	v_mfma_f32_16x16x16_f16 v[232:235], v[116:117], v[148:149], v[232:235]// 000000008CB4: D3CD00E8 07A32974
	ds_write_b32 v13, v84 offset:4352                          // 000000008CBC: D81A1100 0000540D
	ds_write_b32 v13, v85 offset:5408                          // 000000008CC4: D81A1520 0000550D
	v_mfma_f32_16x16x16_f16 v[236:239], v[118:119], v[148:149], v[236:239]// 000000008CCC: D3CD00EC 07B32976
	v_mfma_f32_16x16x16_f16 v[240:243], v[120:121], v[148:149], v[240:243]// 000000008CD4: D3CD00F0 07C32978
	ds_write_b32 v13, v86 offset:4480                          // 000000008CDC: D81A1180 0000560D
	ds_write_b32 v13, v87 offset:5536                          // 000000008CE4: D81A15A0 0000570D
	v_mfma_f32_16x16x16_f16 v[244:247], v[122:123], v[148:149], v[244:247]// 000000008CEC: D3CD00F4 07D3297A
	s_nop 0                                                    // 000000008CF4: BF800000
	s_nop 0                                                    // 000000008CF8: BF800000
	s_nop 0                                                    // 000000008CFC: BF800000
	s_barrier                                                  // 000000008D00: BF8A0000
	v_mfma_f32_16x16x16_f16 a[160:163], a[144:145], v[72:73], a[160:163]// 000000008D04: D3CD80A0 0E829190
	ds_read_b32 v124, v21 offset:50688                         // 000000008D0C: D86CC600 7C000015
	ds_read_b32 v150, v21 offset:50944                         // 000000008D14: D86CC700 96000015
	v_mfma_f32_16x16x16_f16 a[164:167], a[146:147], v[72:73], a[164:167]// 000000008D1C: D3CD80A4 0E929192
	buffer_atomic_pk_add_f16 v136, v7, s[32:35], 0 idxen       // 000000008D24: E1382000 80088807
	v_mfma_f32_16x16x16_f16 a[168:171], a[148:149], v[72:73], a[168:171]// 000000008D2C: D3CD80A8 0EA29194
	s_waitcnt lgkmcnt(6)                                       // 000000008D34: BF8CC67F
	s_barrier                                                  // 000000008D38: BF8A0000
	v_mfma_f32_16x16x16_f16 a[172:175], a[150:151], v[72:73], a[172:175]// 000000008D3C: D3CD80AC 0EB29196
	v_mfma_f32_16x16x16_f16 a[176:179], a[152:153], v[72:73], a[176:179]// 000000008D44: D3CD80B0 0EC29198
	ds_read_b128 v[48:51], v17 offset:17408                    // 000000008D4C: D9FE4400 30000011
	v_mfma_f32_16x16x16_f16 a[180:183], a[154:155], v[72:73], a[180:183]// 000000008D54: D3CD80B4 0ED2919A
	v_mfma_f32_16x16x16_f16 a[184:187], a[156:157], v[72:73], a[184:187]// 000000008D5C: D3CD80B8 0EE2919C
	ds_read_b128 v[52:55], v17 offset:18560                    // 000000008D64: D9FE4880 34000011
	v_mfma_f32_16x16x16_f16 a[188:191], a[158:159], v[72:73], a[188:191]// 000000008D6C: D3CD80BC 0EF2919E
	buffer_atomic_pk_add_f16 v137, v8, s[32:35], 0 idxen       // 000000008D74: E1382000 80088908
	v_mfma_f32_16x16x16_f16 a[192:195], a[144:145], v[74:75], a[192:195]// 000000008D7C: D3CD80C0 0F029590
	ds_read_b128 v[56:59], v17 offset:19712                    // 000000008D84: D9FE4D00 38000011
	v_mfma_f32_16x16x16_f16 a[196:199], a[146:147], v[74:75], a[196:199]// 000000008D8C: D3CD80C4 0F129592
	v_mfma_f32_16x16x16_f16 a[200:203], a[148:149], v[74:75], a[200:203]// 000000008D94: D3CD80C8 0F229594
	ds_read_b128 v[60:63], v17 offset:20864                    // 000000008D9C: D9FE5180 3C000011
	v_mfma_f32_16x16x16_f16 a[204:207], a[150:151], v[74:75], a[204:207]// 000000008DA4: D3CD80CC 0F329596
	v_mfma_f32_16x16x16_f16 a[208:211], a[152:153], v[74:75], a[208:211]// 000000008DAC: D3CD80D0 0F429598
	ds_read_b128 v[64:67], v17 offset:22016                    // 000000008DB4: D9FE5600 40000011
	v_mfma_f32_16x16x16_f16 a[212:215], a[154:155], v[74:75], a[212:215]// 000000008DBC: D3CD80D4 0F52959A
	s_mov_b64 exec, s[96:97]                                   // 000000008DC4: BEFE0160
	buffer_atomic_pk_add_f16 v138, v7, s[32:35], 0 idxen offset:128// 000000008DC8: E1382080 80088A07
	s_mov_b64 exec, s[90:91]                                   // 000000008DD0: BEFE015A
	v_mfma_f32_16x16x16_f16 a[216:219], a[156:157], v[74:75], a[216:219]// 000000008DD4: D3CD80D8 0F62959C
	ds_read_b128 v[68:71], v17 offset:23168                    // 000000008DDC: D9FE5A80 44000011
	v_mfma_f32_16x16x16_f16 a[220:223], a[158:159], v[74:75], a[220:223]// 000000008DE4: D3CD80DC 0F72959E
	v_mfma_f32_16x16x16_f16 a[224:227], a[144:145], v[76:77], a[224:227]// 000000008DEC: D3CD80E0 0F829990
	ds_write_b32 v13, v88 offset:13056                         // 000000008DF4: D81A3300 0000580D
	v_mfma_f32_16x16x16_f16 a[228:231], a[146:147], v[76:77], a[228:231]// 000000008DFC: D3CD80E4 0F929992
	v_mfma_f32_16x16x16_f16 a[232:235], a[148:149], v[76:77], a[232:235]// 000000008E04: D3CD80E8 0FA29994
	ds_write_b32 v13, v89 offset:14112                         // 000000008E0C: D81A3720 0000590D
	v_mfma_f32_16x16x16_f16 a[236:239], a[150:151], v[76:77], a[236:239]// 000000008E14: D3CD80EC 0FB29996
	s_mov_b64 exec, s[96:97]                                   // 000000008E1C: BEFE0160
	buffer_atomic_pk_add_f16 v139, v8, s[32:35], 0 idxen offset:128// 000000008E20: E1382080 80088B08
	s_mov_b64 exec, s[90:91]                                   // 000000008E28: BEFE015A
	v_mfma_f32_16x16x16_f16 a[240:243], a[152:153], v[76:77], a[240:243]// 000000008E2C: D3CD80F0 0FC29998
	ds_write_b32 v13, v90 offset:13184                         // 000000008E34: D81A3380 00005A0D
	v_mfma_f32_16x16x16_f16 a[244:247], a[154:155], v[76:77], a[244:247]// 000000008E3C: D3CD80F4 0FD2999A
	v_mfma_f32_16x16x16_f16 a[248:251], a[156:157], v[76:77], a[248:251]// 000000008E44: D3CD80F8 0FE2999C
	ds_write_b32 v13, v91 offset:14240                         // 000000008E4C: D81A37A0 00005B0D
	v_mfma_f32_16x16x16_f16 a[252:255], a[158:159], v[76:77], a[252:255]// 000000008E54: D3CD80FC 0FF2999E
	s_waitcnt vmcnt(4) lgkmcnt(4)                              // 000000008E5C: BF8C0474
	s_barrier                                                  // 000000008E60: BF8A0000
	v_mfma_f32_16x16x16_f16 v[128:131], a[48:49], v[48:49], 0  // 000000008E64: D3CD0080 0A026130
	ds_read_b128 a[144:147], v10                               // 000000008E6C: DBFE0000 9000000A
	v_mov_b32_e32 v32, 0                                       // 000000008E74: 7E400280
	s_mov_b64 exec, s[92:93]                                   // 000000008E78: BEFE015C
	buffer_load_dword v32, v1, s[8:11], 0 idxen                // 000000008E7C: E0502000 80022001
	s_mov_b64 exec, s[90:91]                                   // 000000008E84: BEFE015A
	v_mfma_f32_16x16x16_f16 v[128:131], a[52:53], v[50:51], v[128:131]// 000000008E88: D3CD0080 0E026534
	v_mul_f32_e32 v124, s49, v124                              // 000000008E90: 0AF8F831
	s_nop 0                                                    // 000000008E94: BF800000
	v_mfma_f32_16x16x16_f16 v[128:131], a[56:57], v[52:53], v[128:131]// 000000008E98: D3CD0080 0E026938
	ds_read_b128 a[148:151], v10 offset:512                    // 000000008EA0: DBFE0200 9400000A
	v_mov_b32_e32 v33, 0                                       // 000000008EA8: 7E420280
	s_mov_b64 exec, s[92:93]                                   // 000000008EAC: BEFE015C
	buffer_load_dword v33, v2, s[8:11], 0 idxen                // 000000008EB0: E0502000 80022102
	s_mov_b64 exec, s[90:91]                                   // 000000008EB8: BEFE015A
	v_mfma_f32_16x16x16_f16 v[128:131], a[60:61], v[54:55], v[128:131]// 000000008EBC: D3CD0080 0E026D3C
	v_mfma_f32_16x16x16_f16 v[128:131], a[64:65], v[56:57], v[128:131]// 000000008EC4: D3CD0080 0E027140
	ds_read_b128 a[152:155], v10 offset:2176                   // 000000008ECC: DBFE0880 9800000A
	v_mov_b32_e32 v34, 0                                       // 000000008ED4: 7E440280
	s_mov_b64 exec, s[92:93]                                   // 000000008ED8: BEFE015C
	buffer_load_dword v34, v3, s[8:11], 0 idxen                // 000000008EDC: E0502000 80022203
	s_mov_b64 exec, s[90:91]                                   // 000000008EE4: BEFE015A
	v_mfma_f32_16x16x16_f16 v[128:131], a[68:69], v[58:59], v[128:131]// 000000008EE8: D3CD0080 0E027544
	v_perm_b32 v84, v37, v36, s63                              // 000000008EF0: D1ED0054 00FE4925
	v_perm_b32 v85, v37, v36, s64                              // 000000008EF8: D1ED0055 01024925
	v_mfma_f32_16x16x16_f16 v[128:131], a[72:73], v[60:61], v[128:131]// 000000008F00: D3CD0080 0E027948
	ds_read_b128 a[156:159], v10 offset:2688                   // 000000008F08: DBFE0A80 9C00000A
	v_mov_b32_e32 v35, 0                                       // 000000008F10: 7E460280
	s_mov_b64 exec, s[92:93]                                   // 000000008F14: BEFE015C
	buffer_load_dword v35, v4, s[8:11], 0 idxen                // 000000008F18: E0502000 80022304
	s_mov_b64 exec, s[90:91]                                   // 000000008F20: BEFE015A
	v_mfma_f32_16x16x16_f16 v[128:131], a[76:77], v[62:63], v[128:131]// 000000008F24: D3CD0080 0E027D4C
	v_perm_b32 v86, v39, v38, s63                              // 000000008F2C: D1ED0056 00FE4D27
	v_perm_b32 v87, v39, v38, s64                              // 000000008F34: D1ED0057 01024D27
	v_mfma_f32_16x16x16_f16 v[128:131], a[80:81], v[64:65], v[128:131]// 000000008F3C: D3CD0080 0E028150
	ds_read_b128 v[92:95], v10 offset:8704                     // 000000008F44: D9FE2200 5C00000A
	v_mov_b32_e32 v40, 0                                       // 000000008F4C: 7E500280
	s_mov_b64 exec, s[92:93]                                   // 000000008F50: BEFE015C
	buffer_load_dword v40, v1, s[20:23], 0 idxen               // 000000008F54: E0502000 80052801
	s_mov_b64 exec, s[90:91]                                   // 000000008F5C: BEFE015A
	v_mfma_f32_16x16x16_f16 v[128:131], a[84:85], v[66:67], v[128:131]// 000000008F60: D3CD0080 0E028554
	v_perm_b32 v88, v45, v44, s63                              // 000000008F68: D1ED0058 00FE592D
	v_perm_b32 v89, v45, v44, s64                              // 000000008F70: D1ED0059 0102592D
	v_mfma_f32_16x16x16_f16 v[128:131], a[88:89], v[68:69], v[128:131]// 000000008F78: D3CD0080 0E028958
	ds_read_b128 v[96:99], v10 offset:9216                     // 000000008F80: D9FE2400 6000000A
	v_mov_b32_e32 v41, 0                                       // 000000008F88: 7E520280
	s_mov_b64 exec, s[92:93]                                   // 000000008F8C: BEFE015C
	buffer_load_dword v41, v2, s[20:23], 0 idxen               // 000000008F90: E0502000 80052902
	s_mov_b64 exec, s[90:91]                                   // 000000008F98: BEFE015A
	v_mfma_f32_16x16x16_f16 v[128:131], a[92:93], v[70:71], v[128:131]// 000000008F9C: D3CD0080 0E028D5C
	v_perm_b32 v90, v47, v46, s63                              // 000000008FA4: D1ED005A 00FE5D2F
	v_perm_b32 v91, v47, v46, s64                              // 000000008FAC: D1ED005B 01025D2F
	v_mfma_f32_16x16x16_f16 v[132:135], a[50:51], v[48:49], 0  // 000000008FB4: D3CD0084 0A026132
	ds_read_b128 v[100:103], v10 offset:10880                  // 000000008FBC: D9FE2A80 6400000A
	v_mov_b32_e32 v42, 0                                       // 000000008FC4: 7E540280
	s_mov_b64 exec, s[92:93]                                   // 000000008FC8: BEFE015C
	buffer_load_dword v42, v3, s[20:23], 0 idxen               // 000000008FCC: E0502000 80052A03
	s_mov_b64 exec, s[90:91]                                   // 000000008FD4: BEFE015A
	v_mfma_f32_16x16x16_f16 v[132:135], a[54:55], v[50:51], v[132:135]// 000000008FD8: D3CD0084 0E126536
	v_mov_b32_dpp v127, v124 quad_perm:[3,3,3,3] row_mask:0xf bank_mask:0xf// 000000008FE0: 7EFE02FA FF00FF7C
	v_mov_b32_dpp v126, v124 quad_perm:[2,2,2,2] row_mask:0xf bank_mask:0xf// 000000008FE8: 7EFC02FA FF00AA7C
	v_mfma_f32_16x16x16_f16 v[132:135], a[58:59], v[52:53], v[132:135]// 000000008FF0: D3CD0084 0E12693A
	ds_read_b128 v[104:107], v10 offset:11392                  // 000000008FF8: D9FE2C80 6800000A
	v_mov_b32_e32 v43, 0                                       // 000000009000: 7E560280
	s_mov_b64 exec, s[92:93]                                   // 000000009004: BEFE015C
	buffer_load_dword v43, v4, s[20:23], 0 idxen               // 000000009008: E0502000 80052B04
	s_mov_b64 exec, s[90:91]                                   // 000000009010: BEFE015A
	v_mfma_f32_16x16x16_f16 v[132:135], a[62:63], v[54:55], v[132:135]// 000000009014: D3CD0084 0E126D3E
	v_mov_b32_dpp v125, v124 quad_perm:[1,1,1,1] row_mask:0xf bank_mask:0xf// 00000000901C: 7EFA02FA FF00557C
	v_mov_b32_dpp v124, v124 quad_perm:[0,0,0,0] row_mask:0xf bank_mask:0xf// 000000009024: 7EF802FA FF00007C
	s_add_u32 s60, 64, s59                                     // 00000000902C: 803C3BC0
	v_mfma_f32_16x16x16_f16 v[132:135], a[66:67], v[56:57], v[132:135]// 000000009030: D3CD0084 0E127142
	buffer_load_dword v9, s[24:27], 0 idxen lds                // 000000009038: E0512000 80060009
	v_mfma_f32_16x16x16_f16 v[132:135], a[70:71], v[58:59], v[132:135]// 000000009040: D3CD0084 0E127546
	s_cmp_lt_u32 s60, s58                                      // 000000009048: BF0A3A3C
	s_cselect_b32 s68, s68, 0                                  // 00000000904C: 85448044
	s_cselect_b32 s69, s69, 0                                  // 000000009050: 85458045
	v_mfma_f32_16x16x16_f16 v[132:135], a[74:75], v[60:61], v[132:135]// 000000009054: D3CD0084 0E12794A
	s_add_u32 s8, s68, s8                                      // 00000000905C: 80080844
	s_addc_u32 s9, 0, s9                                       // 000000009060: 82090980
	v_mfma_f32_16x16x16_f16 v[132:135], a[78:79], v[62:63], v[132:135]// 000000009064: D3CD0084 0E127D4E
	s_add_u32 s20, s68, s20                                    // 00000000906C: 80141444
	s_addc_u32 s21, 0, s21                                     // 000000009070: 82151580
	v_mfma_f32_16x16x16_f16 v[132:135], a[82:83], v[64:65], v[132:135]// 000000009074: D3CD0084 0E128152
	s_mov_b32 m0, s79                                          // 00000000907C: BEFC004F
	v_add_u32_e32 v9, s69, v9                                  // 000000009080: 68121245
	v_mfma_f32_16x16x16_f16 v[132:135], a[86:87], v[66:67], v[132:135]// 000000009084: D3CD0084 0E128556
	s_cmp_ge_u32 s59, s73                                      // 00000000908C: BF09493B
	s_cselect_b32 s66, s67, s66                                // 000000009090: 85424243
	v_mfma_f32_16x16x16_f16 v[132:135], a[90:91], v[68:69], v[132:135]// 000000009094: D3CD0084 0E12895A
	s_addk_i32 s59, 0x10                                       // 00000000909C: B73B0010
	s_nop 0                                                    // 0000000090A0: BF800000
	s_cmp_lt_i32 s59, s58                                      // 0000000090A4: BF043A3B
	v_mfma_f32_16x16x16_f16 v[132:135], a[94:95], v[70:71], v[132:135]// 0000000090A8: D3CD0084 0E128D5E
	s_cbranch_scc0 label_0F16                                  // 0000000090B0: BF84FA69
	s_branch label_0F1D                                        // 0000000090B4: BF82FA6F

00000000000090b8 <label_14AE>:
	s_add_u32 s32, s66, s32                                    // 0000000090B8: 80202042
	s_addc_u32 s33, 0, s33                                     // 0000000090BC: 82212180
	v_lshrrev_b32_e32 v28, 5, v0                               // 0000000090C0: 20380085
	v_mul_i32_i24_e32 v25, 0x42, v28                           // 0000000090C4: 0C3238FF 00000042
	v_and_b32_e32 v28, 31, v0                                  // 0000000090CC: 2638009F
	v_mul_i32_i24_e32 v29, 2, v28                              // 0000000090D0: 0C3A3882
	v_add_u32_e32 v25, v29, v25                                // 0000000090D4: 6832331D
	s_mul_i32 s60, s47, 0x420                                  // 0000000090D8: 923CFF2F 00000420
	v_add_u32_e32 v25, s60, v25                                // 0000000090E0: 6832323C
	v_lshlrev_b32_e32 v25, 2, v25                              // 0000000090E4: 24323282
	v_mul_f32_e32 v128, s48, v128                              // 0000000090E8: 0B010030
	v_mul_f32_e32 v129, s48, v129                              // 0000000090EC: 0B030230
	v_mul_f32_e32 v130, s48, v130                              // 0000000090F0: 0B050430
	v_mul_f32_e32 v131, s48, v131                              // 0000000090F4: 0B070630
	v_mul_f32_e32 v132, s48, v132                              // 0000000090F8: 0B090830
	v_mul_f32_e32 v133, s48, v133                              // 0000000090FC: 0B0B0A30
	v_mul_f32_e32 v134, s48, v134                              // 000000009100: 0B0D0C30
	v_mul_f32_e32 v135, s48, v135                              // 000000009104: 0B0F0E30
	v_cvt_pkrtz_f16_f32 v128, v128, v129                       // 000000009108: D2960080 00030380
	v_cvt_pkrtz_f16_f32 v129, v130, v131                       // 000000009110: D2960081 00030782
	v_cvt_pkrtz_f16_f32 v130, v132, v133                       // 000000009118: D2960082 00030B84
	v_cvt_pkrtz_f16_f32 v131, v134, v135                       // 000000009120: D2960083 00030F86
	ds_write_b64 v20, v[128:129] offset:24320                  // 000000009128: D89A5F00 00008014
	ds_write_b64 v20, v[130:131] offset:24864                  // 000000009130: D89A6120 00008214
	s_waitcnt lgkmcnt(0)                                       // 000000009138: BF8CC07F
	s_barrier                                                  // 00000000913C: BF8A0000
	ds_read_b32 v136, v19 offset:24320                         // 000000009140: D86C5F00 88000013
	ds_read_b32 v137, v19 offset:24336                         // 000000009148: D86C5F10 89000013
	ds_read_b32 v138, v19 offset:26496                         // 000000009150: D86C6780 8A000013
	ds_read_b32 v139, v19 offset:26512                         // 000000009158: D86C6790 8B000013
	s_waitcnt lgkmcnt(0)                                       // 000000009160: BF8CC07F
	s_barrier                                                  // 000000009164: BF8A0000
	buffer_atomic_pk_add_f16 v136, v7, s[32:35], 0 idxen       // 000000009168: E1382000 80088807
	buffer_atomic_pk_add_f16 v137, v8, s[32:35], 0 idxen       // 000000009170: E1382000 80088908
	s_mov_b64 exec, s[96:97]                                   // 000000009178: BEFE0160
	buffer_atomic_pk_add_f16 v138, v7, s[32:35], 0 idxen offset:128// 00000000917C: E1382080 80088A07
	s_mov_b64 exec, s[90:91]                                   // 000000009184: BEFE015A
	s_mov_b64 exec, s[96:97]                                   // 000000009188: BEFE0160
	buffer_atomic_pk_add_f16 v139, v8, s[32:35], 0 idxen offset:128// 00000000918C: E1382080 80088B08
	s_mov_b64 exec, s[90:91]                                   // 000000009194: BEFE015A
	v_lshrrev_b32_e32 v28, 4, v0                               // 000000009198: 20380084
	v_mul_i32_i24_e32 v24, 2, v28                              // 00000000919C: 0C303882
	v_and_b32_e32 v28, 15, v0                                  // 0000000091A0: 2638008F
	v_mul_i32_i24_e32 v29, 0x42, v28                           // 0000000091A4: 0C3A38FF 00000042
	v_add_u32_e32 v24, v29, v24                                // 0000000091AC: 6830311D
	s_mul_i32 s60, s47, 0x420                                  // 0000000091B0: 923CFF2F 00000420
	v_add_u32_e32 v24, s60, v24                                // 0000000091B8: 6830303C
	v_lshlrev_b32_e32 v24, 2, v24                              // 0000000091BC: 24303082
	v_accvgpr_read_b32 v28, a160                               // 0000000091C0: D3D8401C 180001A0
	v_accvgpr_read_b32 v29, a161                               // 0000000091C8: D3D8401D 180001A1
	v_mul_f32_e32 v28, s48, v28                                // 0000000091D0: 0A383830
	v_mul_f32_e32 v29, s48, v29                                // 0000000091D4: 0A3A3A30
	v_cvt_pkrtz_f16_f32 v48, v28, v29                          // 0000000091D8: D2960030 00023B1C
	v_accvgpr_read_b32 v28, a162                               // 0000000091E0: D3D8401C 180001A2
	v_accvgpr_read_b32 v29, a163                               // 0000000091E8: D3D8401D 180001A3
	v_mul_f32_e32 v28, s48, v28                                // 0000000091F0: 0A383830
	v_mul_f32_e32 v29, s48, v29                                // 0000000091F4: 0A3A3A30
	v_cvt_pkrtz_f16_f32 v49, v28, v29                          // 0000000091F8: D2960031 00023B1C
	v_accvgpr_read_b32 v28, a164                               // 000000009200: D3D8401C 180001A4
	v_accvgpr_read_b32 v29, a165                               // 000000009208: D3D8401D 180001A5
	v_mul_f32_e32 v28, s48, v28                                // 000000009210: 0A383830
	v_mul_f32_e32 v29, s48, v29                                // 000000009214: 0A3A3A30
	v_cvt_pkrtz_f16_f32 v50, v28, v29                          // 000000009218: D2960032 00023B1C
	v_accvgpr_read_b32 v28, a166                               // 000000009220: D3D8401C 180001A6
	v_accvgpr_read_b32 v29, a167                               // 000000009228: D3D8401D 180001A7
	v_mul_f32_e32 v28, s48, v28                                // 000000009230: 0A383830
	v_mul_f32_e32 v29, s48, v29                                // 000000009234: 0A3A3A30
	v_cvt_pkrtz_f16_f32 v51, v28, v29                          // 000000009238: D2960033 00023B1C
	v_accvgpr_read_b32 v28, a168                               // 000000009240: D3D8401C 180001A8
	v_accvgpr_read_b32 v29, a169                               // 000000009248: D3D8401D 180001A9
	v_mul_f32_e32 v28, s48, v28                                // 000000009250: 0A383830
	v_mul_f32_e32 v29, s48, v29                                // 000000009254: 0A3A3A30
	v_cvt_pkrtz_f16_f32 v52, v28, v29                          // 000000009258: D2960034 00023B1C
	v_accvgpr_read_b32 v28, a170                               // 000000009260: D3D8401C 180001AA
	v_accvgpr_read_b32 v29, a171                               // 000000009268: D3D8401D 180001AB
	v_mul_f32_e32 v28, s48, v28                                // 000000009270: 0A383830
	v_mul_f32_e32 v29, s48, v29                                // 000000009274: 0A3A3A30
	v_cvt_pkrtz_f16_f32 v53, v28, v29                          // 000000009278: D2960035 00023B1C
	v_accvgpr_read_b32 v28, a172                               // 000000009280: D3D8401C 180001AC
	v_accvgpr_read_b32 v29, a173                               // 000000009288: D3D8401D 180001AD
	v_mul_f32_e32 v28, s48, v28                                // 000000009290: 0A383830
	v_mul_f32_e32 v29, s48, v29                                // 000000009294: 0A3A3A30
	v_cvt_pkrtz_f16_f32 v54, v28, v29                          // 000000009298: D2960036 00023B1C
	v_accvgpr_read_b32 v28, a174                               // 0000000092A0: D3D8401C 180001AE
	v_accvgpr_read_b32 v29, a175                               // 0000000092A8: D3D8401D 180001AF
	v_mul_f32_e32 v28, s48, v28                                // 0000000092B0: 0A383830
	v_mul_f32_e32 v29, s48, v29                                // 0000000092B4: 0A3A3A30
	v_cvt_pkrtz_f16_f32 v55, v28, v29                          // 0000000092B8: D2960037 00023B1C
	v_accvgpr_read_b32 v28, a176                               // 0000000092C0: D3D8401C 180001B0
	v_accvgpr_read_b32 v29, a177                               // 0000000092C8: D3D8401D 180001B1
	v_mul_f32_e32 v28, s48, v28                                // 0000000092D0: 0A383830
	v_mul_f32_e32 v29, s48, v29                                // 0000000092D4: 0A3A3A30
	v_cvt_pkrtz_f16_f32 v56, v28, v29                          // 0000000092D8: D2960038 00023B1C
	v_accvgpr_read_b32 v28, a178                               // 0000000092E0: D3D8401C 180001B2
	v_accvgpr_read_b32 v29, a179                               // 0000000092E8: D3D8401D 180001B3
	v_mul_f32_e32 v28, s48, v28                                // 0000000092F0: 0A383830
	v_mul_f32_e32 v29, s48, v29                                // 0000000092F4: 0A3A3A30
	v_cvt_pkrtz_f16_f32 v57, v28, v29                          // 0000000092F8: D2960039 00023B1C
	v_accvgpr_read_b32 v28, a180                               // 000000009300: D3D8401C 180001B4
	v_accvgpr_read_b32 v29, a181                               // 000000009308: D3D8401D 180001B5
	v_mul_f32_e32 v28, s48, v28                                // 000000009310: 0A383830
	v_mul_f32_e32 v29, s48, v29                                // 000000009314: 0A3A3A30
	v_cvt_pkrtz_f16_f32 v58, v28, v29                          // 000000009318: D296003A 00023B1C
	v_accvgpr_read_b32 v28, a182                               // 000000009320: D3D8401C 180001B6
	v_accvgpr_read_b32 v29, a183                               // 000000009328: D3D8401D 180001B7
	v_mul_f32_e32 v28, s48, v28                                // 000000009330: 0A383830
	v_mul_f32_e32 v29, s48, v29                                // 000000009334: 0A3A3A30
	v_cvt_pkrtz_f16_f32 v59, v28, v29                          // 000000009338: D296003B 00023B1C
	v_accvgpr_read_b32 v28, a184                               // 000000009340: D3D8401C 180001B8
	v_accvgpr_read_b32 v29, a185                               // 000000009348: D3D8401D 180001B9
	v_mul_f32_e32 v28, s48, v28                                // 000000009350: 0A383830
	v_mul_f32_e32 v29, s48, v29                                // 000000009354: 0A3A3A30
	v_cvt_pkrtz_f16_f32 v60, v28, v29                          // 000000009358: D296003C 00023B1C
	v_accvgpr_read_b32 v28, a186                               // 000000009360: D3D8401C 180001BA
	v_accvgpr_read_b32 v29, a187                               // 000000009368: D3D8401D 180001BB
	v_mul_f32_e32 v28, s48, v28                                // 000000009370: 0A383830
	v_mul_f32_e32 v29, s48, v29                                // 000000009374: 0A3A3A30
	v_cvt_pkrtz_f16_f32 v61, v28, v29                          // 000000009378: D296003D 00023B1C
	v_accvgpr_read_b32 v28, a188                               // 000000009380: D3D8401C 180001BC
	v_accvgpr_read_b32 v29, a189                               // 000000009388: D3D8401D 180001BD
	v_mul_f32_e32 v28, s48, v28                                // 000000009390: 0A383830
	v_mul_f32_e32 v29, s48, v29                                // 000000009394: 0A3A3A30
	v_cvt_pkrtz_f16_f32 v62, v28, v29                          // 000000009398: D296003E 00023B1C
	v_accvgpr_read_b32 v28, a190                               // 0000000093A0: D3D8401C 180001BE
	v_accvgpr_read_b32 v29, a191                               // 0000000093A8: D3D8401D 180001BF
	v_mul_f32_e32 v28, s48, v28                                // 0000000093B0: 0A383830
	v_mul_f32_e32 v29, s48, v29                                // 0000000093B4: 0A3A3A30
	v_cvt_pkrtz_f16_f32 v63, v28, v29                          // 0000000093B8: D296003F 00023B1C
	ds_write_b64 v25, v[48:49]                                 // 0000000093C0: D89A0000 00003019
	ds_write_b64 v25, v[50:51] offset:528                      // 0000000093C8: D89A0210 00003219
	ds_write_b64 v25, v[52:53] offset:1056                     // 0000000093D0: D89A0420 00003419
	ds_write_b64 v25, v[54:55] offset:1584                     // 0000000093D8: D89A0630 00003619
	ds_write_b64 v25, v[56:57] offset:2112                     // 0000000093E0: D89A0840 00003819
	ds_write_b64 v25, v[58:59] offset:2640                     // 0000000093E8: D89A0A50 00003A19
	ds_write_b64 v25, v[60:61] offset:3168                     // 0000000093F0: D89A0C60 00003C19
	ds_write_b64 v25, v[62:63] offset:3696                     // 0000000093F8: D89A0E70 00003E19
	s_waitcnt lgkmcnt(0)                                       // 000000009400: BF8CC07F
	s_barrier                                                  // 000000009404: BF8A0000
	ds_read_b64 v[48:49], v24                                  // 000000009408: D8EC0000 30000018
	ds_read_b64 v[50:51], v24 offset:128                       // 000000009410: D8EC0080 32000018
	ds_read_b64 v[52:53], v24 offset:32                        // 000000009418: D8EC0020 34000018
	ds_read_b64 v[54:55], v24 offset:160                       // 000000009420: D8EC00A0 36000018
	ds_read_b64 v[56:57], v24 offset:64                        // 000000009428: D8EC0040 38000018
	ds_read_b64 v[58:59], v24 offset:192                       // 000000009430: D8EC00C0 3A000018
	ds_read_b64 v[60:61], v24 offset:96                        // 000000009438: D8EC0060 3C000018
	ds_read_b64 v[62:63], v24 offset:224                       // 000000009440: D8EC00E0 3E000018
	s_waitcnt lgkmcnt(0)                                       // 000000009448: BF8CC07F
	s_mov_b64 exec, s[94:95]                                   // 00000000944C: BEFE015E
	buffer_store_dwordx4 v[48:51], v5, s[36:39], 0 idxen       // 000000009450: E07C2000 80093005
	s_mov_b64 exec, s[90:91]                                   // 000000009458: BEFE015A
	v_add_u32_e32 v5, s46, v5                                  // 00000000945C: 680A0A2E
	s_mov_b64 exec, s[94:95]                                   // 000000009460: BEFE015E
	buffer_store_dwordx4 v[52:55], v5, s[36:39], 0 idxen       // 000000009464: E07C2000 80093405
	s_mov_b64 exec, s[90:91]                                   // 00000000946C: BEFE015A
	v_add_u32_e32 v5, s46, v5                                  // 000000009470: 680A0A2E
	s_mov_b64 exec, s[94:95]                                   // 000000009474: BEFE015E
	buffer_store_dwordx4 v[56:59], v5, s[36:39], 0 idxen       // 000000009478: E07C2000 80093805
	s_mov_b64 exec, s[90:91]                                   // 000000009480: BEFE015A
	v_add_u32_e32 v5, s46, v5                                  // 000000009484: 680A0A2E
	s_mov_b64 exec, s[94:95]                                   // 000000009488: BEFE015E
	buffer_store_dwordx4 v[60:63], v5, s[36:39], 0 idxen       // 00000000948C: E07C2000 80093C05
	s_mov_b64 exec, s[90:91]                                   // 000000009494: BEFE015A
	v_add_u32_e32 v5, s46, v5                                  // 000000009498: 680A0A2E
	s_mul_i32 s60, 12, s46                                     // 00000000949C: 923C2E8C
	v_add_u32_e32 v5, s60, v5                                  // 0000000094A0: 680A0A3C
	s_barrier                                                  // 0000000094A4: BF8A0000
	s_cmp_ge_i32 1, s72                                        // 0000000094A8: BF034881
	s_cbranch_scc1 label_1724                                  // 0000000094AC: BF850178
	v_accvgpr_read_b32 v28, a192                               // 0000000094B0: D3D8401C 180001C0
	v_accvgpr_read_b32 v29, a193                               // 0000000094B8: D3D8401D 180001C1
	v_mul_f32_e32 v28, s48, v28                                // 0000000094C0: 0A383830
	v_mul_f32_e32 v29, s48, v29                                // 0000000094C4: 0A3A3A30
	v_cvt_pkrtz_f16_f32 v64, v28, v29                          // 0000000094C8: D2960040 00023B1C
	v_accvgpr_read_b32 v28, a194                               // 0000000094D0: D3D8401C 180001C2
	v_accvgpr_read_b32 v29, a195                               // 0000000094D8: D3D8401D 180001C3
	v_mul_f32_e32 v28, s48, v28                                // 0000000094E0: 0A383830
	v_mul_f32_e32 v29, s48, v29                                // 0000000094E4: 0A3A3A30
	v_cvt_pkrtz_f16_f32 v65, v28, v29                          // 0000000094E8: D2960041 00023B1C
	v_accvgpr_read_b32 v28, a196                               // 0000000094F0: D3D8401C 180001C4
	v_accvgpr_read_b32 v29, a197                               // 0000000094F8: D3D8401D 180001C5
	v_mul_f32_e32 v28, s48, v28                                // 000000009500: 0A383830
	v_mul_f32_e32 v29, s48, v29                                // 000000009504: 0A3A3A30
	v_cvt_pkrtz_f16_f32 v66, v28, v29                          // 000000009508: D2960042 00023B1C
	v_accvgpr_read_b32 v28, a198                               // 000000009510: D3D8401C 180001C6
	v_accvgpr_read_b32 v29, a199                               // 000000009518: D3D8401D 180001C7
	v_mul_f32_e32 v28, s48, v28                                // 000000009520: 0A383830
	v_mul_f32_e32 v29, s48, v29                                // 000000009524: 0A3A3A30
	v_cvt_pkrtz_f16_f32 v67, v28, v29                          // 000000009528: D2960043 00023B1C
	v_accvgpr_read_b32 v28, a200                               // 000000009530: D3D8401C 180001C8
	v_accvgpr_read_b32 v29, a201                               // 000000009538: D3D8401D 180001C9
	v_mul_f32_e32 v28, s48, v28                                // 000000009540: 0A383830
	v_mul_f32_e32 v29, s48, v29                                // 000000009544: 0A3A3A30
	v_cvt_pkrtz_f16_f32 v68, v28, v29                          // 000000009548: D2960044 00023B1C
	v_accvgpr_read_b32 v28, a202                               // 000000009550: D3D8401C 180001CA
	v_accvgpr_read_b32 v29, a203                               // 000000009558: D3D8401D 180001CB
	v_mul_f32_e32 v28, s48, v28                                // 000000009560: 0A383830
	v_mul_f32_e32 v29, s48, v29                                // 000000009564: 0A3A3A30
	v_cvt_pkrtz_f16_f32 v69, v28, v29                          // 000000009568: D2960045 00023B1C
	v_accvgpr_read_b32 v28, a204                               // 000000009570: D3D8401C 180001CC
	v_accvgpr_read_b32 v29, a205                               // 000000009578: D3D8401D 180001CD
	v_mul_f32_e32 v28, s48, v28                                // 000000009580: 0A383830
	v_mul_f32_e32 v29, s48, v29                                // 000000009584: 0A3A3A30
	v_cvt_pkrtz_f16_f32 v70, v28, v29                          // 000000009588: D2960046 00023B1C
	v_accvgpr_read_b32 v28, a206                               // 000000009590: D3D8401C 180001CE
	v_accvgpr_read_b32 v29, a207                               // 000000009598: D3D8401D 180001CF
	v_mul_f32_e32 v28, s48, v28                                // 0000000095A0: 0A383830
	v_mul_f32_e32 v29, s48, v29                                // 0000000095A4: 0A3A3A30
	v_cvt_pkrtz_f16_f32 v71, v28, v29                          // 0000000095A8: D2960047 00023B1C
	v_accvgpr_read_b32 v28, a208                               // 0000000095B0: D3D8401C 180001D0
	v_accvgpr_read_b32 v29, a209                               // 0000000095B8: D3D8401D 180001D1
	v_mul_f32_e32 v28, s48, v28                                // 0000000095C0: 0A383830
	v_mul_f32_e32 v29, s48, v29                                // 0000000095C4: 0A3A3A30
	v_cvt_pkrtz_f16_f32 v72, v28, v29                          // 0000000095C8: D2960048 00023B1C
	v_accvgpr_read_b32 v28, a210                               // 0000000095D0: D3D8401C 180001D2
	v_accvgpr_read_b32 v29, a211                               // 0000000095D8: D3D8401D 180001D3
	v_mul_f32_e32 v28, s48, v28                                // 0000000095E0: 0A383830
	v_mul_f32_e32 v29, s48, v29                                // 0000000095E4: 0A3A3A30
	v_cvt_pkrtz_f16_f32 v73, v28, v29                          // 0000000095E8: D2960049 00023B1C
	v_accvgpr_read_b32 v28, a212                               // 0000000095F0: D3D8401C 180001D4
	v_accvgpr_read_b32 v29, a213                               // 0000000095F8: D3D8401D 180001D5
	v_mul_f32_e32 v28, s48, v28                                // 000000009600: 0A383830
	v_mul_f32_e32 v29, s48, v29                                // 000000009604: 0A3A3A30
	v_cvt_pkrtz_f16_f32 v74, v28, v29                          // 000000009608: D296004A 00023B1C
	v_accvgpr_read_b32 v28, a214                               // 000000009610: D3D8401C 180001D6
	v_accvgpr_read_b32 v29, a215                               // 000000009618: D3D8401D 180001D7
	v_mul_f32_e32 v28, s48, v28                                // 000000009620: 0A383830
	v_mul_f32_e32 v29, s48, v29                                // 000000009624: 0A3A3A30
	v_cvt_pkrtz_f16_f32 v75, v28, v29                          // 000000009628: D296004B 00023B1C
	v_accvgpr_read_b32 v28, a216                               // 000000009630: D3D8401C 180001D8
	v_accvgpr_read_b32 v29, a217                               // 000000009638: D3D8401D 180001D9
	v_mul_f32_e32 v28, s48, v28                                // 000000009640: 0A383830
	v_mul_f32_e32 v29, s48, v29                                // 000000009644: 0A3A3A30
	v_cvt_pkrtz_f16_f32 v76, v28, v29                          // 000000009648: D296004C 00023B1C
	v_accvgpr_read_b32 v28, a218                               // 000000009650: D3D8401C 180001DA
	v_accvgpr_read_b32 v29, a219                               // 000000009658: D3D8401D 180001DB
	v_mul_f32_e32 v28, s48, v28                                // 000000009660: 0A383830
	v_mul_f32_e32 v29, s48, v29                                // 000000009664: 0A3A3A30
	v_cvt_pkrtz_f16_f32 v77, v28, v29                          // 000000009668: D296004D 00023B1C
	v_accvgpr_read_b32 v28, a220                               // 000000009670: D3D8401C 180001DC
	v_accvgpr_read_b32 v29, a221                               // 000000009678: D3D8401D 180001DD
	v_mul_f32_e32 v28, s48, v28                                // 000000009680: 0A383830
	v_mul_f32_e32 v29, s48, v29                                // 000000009684: 0A3A3A30
	v_cvt_pkrtz_f16_f32 v78, v28, v29                          // 000000009688: D296004E 00023B1C
	v_accvgpr_read_b32 v28, a222                               // 000000009690: D3D8401C 180001DE
	v_accvgpr_read_b32 v29, a223                               // 000000009698: D3D8401D 180001DF
	v_mul_f32_e32 v28, s48, v28                                // 0000000096A0: 0A383830
	v_mul_f32_e32 v29, s48, v29                                // 0000000096A4: 0A3A3A30
	v_cvt_pkrtz_f16_f32 v79, v28, v29                          // 0000000096A8: D296004F 00023B1C
	ds_write_b64 v25, v[64:65] offset:16896                    // 0000000096B0: D89A4200 00004019
	ds_write_b64 v25, v[66:67] offset:17424                    // 0000000096B8: D89A4410 00004219
	ds_write_b64 v25, v[68:69] offset:17952                    // 0000000096C0: D89A4620 00004419
	ds_write_b64 v25, v[70:71] offset:18480                    // 0000000096C8: D89A4830 00004619
	ds_write_b64 v25, v[72:73] offset:19008                    // 0000000096D0: D89A4A40 00004819
	ds_write_b64 v25, v[74:75] offset:19536                    // 0000000096D8: D89A4C50 00004A19
	ds_write_b64 v25, v[76:77] offset:20064                    // 0000000096E0: D89A4E60 00004C19
	ds_write_b64 v25, v[78:79] offset:20592                    // 0000000096E8: D89A5070 00004E19
	s_waitcnt lgkmcnt(0)                                       // 0000000096F0: BF8CC07F
	s_barrier                                                  // 0000000096F4: BF8A0000
	ds_read_b64 v[64:65], v24 offset:16896                     // 0000000096F8: D8EC4200 40000018
	ds_read_b64 v[66:67], v24 offset:17024                     // 000000009700: D8EC4280 42000018
	ds_read_b64 v[68:69], v24 offset:16928                     // 000000009708: D8EC4220 44000018
	ds_read_b64 v[70:71], v24 offset:17056                     // 000000009710: D8EC42A0 46000018
	ds_read_b64 v[72:73], v24 offset:16960                     // 000000009718: D8EC4240 48000018
	ds_read_b64 v[74:75], v24 offset:17088                     // 000000009720: D8EC42C0 4A000018
	ds_read_b64 v[76:77], v24 offset:16992                     // 000000009728: D8EC4260 4C000018
	ds_read_b64 v[78:79], v24 offset:17120                     // 000000009730: D8EC42E0 4E000018
	s_waitcnt lgkmcnt(0)                                       // 000000009738: BF8CC07F
	s_mov_b64 exec, s[94:95]                                   // 00000000973C: BEFE015E
	buffer_store_dwordx4 v[64:67], v5, s[36:39], 0 idxen       // 000000009740: E07C2000 80094005
	s_mov_b64 exec, s[90:91]                                   // 000000009748: BEFE015A
	v_add_u32_e32 v5, s46, v5                                  // 00000000974C: 680A0A2E
	s_mov_b64 exec, s[94:95]                                   // 000000009750: BEFE015E
	buffer_store_dwordx4 v[68:71], v5, s[36:39], 0 idxen       // 000000009754: E07C2000 80094405
	s_mov_b64 exec, s[90:91]                                   // 00000000975C: BEFE015A
	v_add_u32_e32 v5, s46, v5                                  // 000000009760: 680A0A2E
	s_mov_b64 exec, s[94:95]                                   // 000000009764: BEFE015E
	buffer_store_dwordx4 v[72:75], v5, s[36:39], 0 idxen       // 000000009768: E07C2000 80094805
	s_mov_b64 exec, s[90:91]                                   // 000000009770: BEFE015A
	v_add_u32_e32 v5, s46, v5                                  // 000000009774: 680A0A2E
	s_mov_b64 exec, s[94:95]                                   // 000000009778: BEFE015E
	buffer_store_dwordx4 v[76:79], v5, s[36:39], 0 idxen       // 00000000977C: E07C2000 80094C05
	s_mov_b64 exec, s[90:91]                                   // 000000009784: BEFE015A
	v_add_u32_e32 v5, s46, v5                                  // 000000009788: 680A0A2E
	s_mul_i32 s60, 12, s46                                     // 00000000978C: 923C2E8C
	v_add_u32_e32 v5, s60, v5                                  // 000000009790: 680A0A3C
	s_barrier                                                  // 000000009794: BF8A0000
	s_cmp_ge_i32 2, s72                                        // 000000009798: BF034882
	s_cbranch_scc1 label_1724                                  // 00000000979C: BF8500BC
	v_accvgpr_read_b32 v28, a224                               // 0000000097A0: D3D8401C 180001E0
	v_accvgpr_read_b32 v29, a225                               // 0000000097A8: D3D8401D 180001E1
	v_mul_f32_e32 v28, s48, v28                                // 0000000097B0: 0A383830
	v_mul_f32_e32 v29, s48, v29                                // 0000000097B4: 0A3A3A30
	v_cvt_pkrtz_f16_f32 v80, v28, v29                          // 0000000097B8: D2960050 00023B1C
	v_accvgpr_read_b32 v28, a226                               // 0000000097C0: D3D8401C 180001E2
	v_accvgpr_read_b32 v29, a227                               // 0000000097C8: D3D8401D 180001E3
	v_mul_f32_e32 v28, s48, v28                                // 0000000097D0: 0A383830
	v_mul_f32_e32 v29, s48, v29                                // 0000000097D4: 0A3A3A30
	v_cvt_pkrtz_f16_f32 v81, v28, v29                          // 0000000097D8: D2960051 00023B1C
	v_accvgpr_read_b32 v28, a228                               // 0000000097E0: D3D8401C 180001E4
	v_accvgpr_read_b32 v29, a229                               // 0000000097E8: D3D8401D 180001E5
	v_mul_f32_e32 v28, s48, v28                                // 0000000097F0: 0A383830
	v_mul_f32_e32 v29, s48, v29                                // 0000000097F4: 0A3A3A30
	v_cvt_pkrtz_f16_f32 v82, v28, v29                          // 0000000097F8: D2960052 00023B1C
	v_accvgpr_read_b32 v28, a230                               // 000000009800: D3D8401C 180001E6
	v_accvgpr_read_b32 v29, a231                               // 000000009808: D3D8401D 180001E7
	v_mul_f32_e32 v28, s48, v28                                // 000000009810: 0A383830
	v_mul_f32_e32 v29, s48, v29                                // 000000009814: 0A3A3A30
	v_cvt_pkrtz_f16_f32 v83, v28, v29                          // 000000009818: D2960053 00023B1C
	v_accvgpr_read_b32 v28, a232                               // 000000009820: D3D8401C 180001E8
	v_accvgpr_read_b32 v29, a233                               // 000000009828: D3D8401D 180001E9
	v_mul_f32_e32 v28, s48, v28                                // 000000009830: 0A383830
	v_mul_f32_e32 v29, s48, v29                                // 000000009834: 0A3A3A30
	v_cvt_pkrtz_f16_f32 v84, v28, v29                          // 000000009838: D2960054 00023B1C
	v_accvgpr_read_b32 v28, a234                               // 000000009840: D3D8401C 180001EA
	v_accvgpr_read_b32 v29, a235                               // 000000009848: D3D8401D 180001EB
	v_mul_f32_e32 v28, s48, v28                                // 000000009850: 0A383830
	v_mul_f32_e32 v29, s48, v29                                // 000000009854: 0A3A3A30
	v_cvt_pkrtz_f16_f32 v85, v28, v29                          // 000000009858: D2960055 00023B1C
	v_accvgpr_read_b32 v28, a236                               // 000000009860: D3D8401C 180001EC
	v_accvgpr_read_b32 v29, a237                               // 000000009868: D3D8401D 180001ED
	v_mul_f32_e32 v28, s48, v28                                // 000000009870: 0A383830
	v_mul_f32_e32 v29, s48, v29                                // 000000009874: 0A3A3A30
	v_cvt_pkrtz_f16_f32 v86, v28, v29                          // 000000009878: D2960056 00023B1C
	v_accvgpr_read_b32 v28, a238                               // 000000009880: D3D8401C 180001EE
	v_accvgpr_read_b32 v29, a239                               // 000000009888: D3D8401D 180001EF
	v_mul_f32_e32 v28, s48, v28                                // 000000009890: 0A383830
	v_mul_f32_e32 v29, s48, v29                                // 000000009894: 0A3A3A30
	v_cvt_pkrtz_f16_f32 v87, v28, v29                          // 000000009898: D2960057 00023B1C
	v_accvgpr_read_b32 v28, a240                               // 0000000098A0: D3D8401C 180001F0
	v_accvgpr_read_b32 v29, a241                               // 0000000098A8: D3D8401D 180001F1
	v_mul_f32_e32 v28, s48, v28                                // 0000000098B0: 0A383830
	v_mul_f32_e32 v29, s48, v29                                // 0000000098B4: 0A3A3A30
	v_cvt_pkrtz_f16_f32 v88, v28, v29                          // 0000000098B8: D2960058 00023B1C
	v_accvgpr_read_b32 v28, a242                               // 0000000098C0: D3D8401C 180001F2
	v_accvgpr_read_b32 v29, a243                               // 0000000098C8: D3D8401D 180001F3
	v_mul_f32_e32 v28, s48, v28                                // 0000000098D0: 0A383830
	v_mul_f32_e32 v29, s48, v29                                // 0000000098D4: 0A3A3A30
	v_cvt_pkrtz_f16_f32 v89, v28, v29                          // 0000000098D8: D2960059 00023B1C
	v_accvgpr_read_b32 v28, a244                               // 0000000098E0: D3D8401C 180001F4
	v_accvgpr_read_b32 v29, a245                               // 0000000098E8: D3D8401D 180001F5
	v_mul_f32_e32 v28, s48, v28                                // 0000000098F0: 0A383830
	v_mul_f32_e32 v29, s48, v29                                // 0000000098F4: 0A3A3A30
	v_cvt_pkrtz_f16_f32 v90, v28, v29                          // 0000000098F8: D296005A 00023B1C
	v_accvgpr_read_b32 v28, a246                               // 000000009900: D3D8401C 180001F6
	v_accvgpr_read_b32 v29, a247                               // 000000009908: D3D8401D 180001F7
	v_mul_f32_e32 v28, s48, v28                                // 000000009910: 0A383830
	v_mul_f32_e32 v29, s48, v29                                // 000000009914: 0A3A3A30
	v_cvt_pkrtz_f16_f32 v91, v28, v29                          // 000000009918: D296005B 00023B1C
	v_accvgpr_read_b32 v28, a248                               // 000000009920: D3D8401C 180001F8
	v_accvgpr_read_b32 v29, a249                               // 000000009928: D3D8401D 180001F9
	v_mul_f32_e32 v28, s48, v28                                // 000000009930: 0A383830
	v_mul_f32_e32 v29, s48, v29                                // 000000009934: 0A3A3A30
	v_cvt_pkrtz_f16_f32 v92, v28, v29                          // 000000009938: D296005C 00023B1C
	v_accvgpr_read_b32 v28, a250                               // 000000009940: D3D8401C 180001FA
	v_accvgpr_read_b32 v29, a251                               // 000000009948: D3D8401D 180001FB
	v_mul_f32_e32 v28, s48, v28                                // 000000009950: 0A383830
	v_mul_f32_e32 v29, s48, v29                                // 000000009954: 0A3A3A30
	v_cvt_pkrtz_f16_f32 v93, v28, v29                          // 000000009958: D296005D 00023B1C
	v_accvgpr_read_b32 v28, a252                               // 000000009960: D3D8401C 180001FC
	v_accvgpr_read_b32 v29, a253                               // 000000009968: D3D8401D 180001FD
	v_mul_f32_e32 v28, s48, v28                                // 000000009970: 0A383830
	v_mul_f32_e32 v29, s48, v29                                // 000000009974: 0A3A3A30
	v_cvt_pkrtz_f16_f32 v94, v28, v29                          // 000000009978: D296005E 00023B1C
	v_accvgpr_read_b32 v28, a254                               // 000000009980: D3D8401C 180001FE
	v_accvgpr_read_b32 v29, a255                               // 000000009988: D3D8401D 180001FF
	v_mul_f32_e32 v28, s48, v28                                // 000000009990: 0A383830
	v_mul_f32_e32 v29, s48, v29                                // 000000009994: 0A3A3A30
	v_cvt_pkrtz_f16_f32 v95, v28, v29                          // 000000009998: D296005F 00023B1C
	ds_write_b64 v25, v[80:81] offset:33792                    // 0000000099A0: D89A8400 00005019
	ds_write_b64 v25, v[82:83] offset:34320                    // 0000000099A8: D89A8610 00005219
	ds_write_b64 v25, v[84:85] offset:34848                    // 0000000099B0: D89A8820 00005419
	ds_write_b64 v25, v[86:87] offset:35376                    // 0000000099B8: D89A8A30 00005619
	ds_write_b64 v25, v[88:89] offset:35904                    // 0000000099C0: D89A8C40 00005819
	ds_write_b64 v25, v[90:91] offset:36432                    // 0000000099C8: D89A8E50 00005A19
	ds_write_b64 v25, v[92:93] offset:36960                    // 0000000099D0: D89A9060 00005C19
	ds_write_b64 v25, v[94:95] offset:37488                    // 0000000099D8: D89A9270 00005E19
	s_waitcnt lgkmcnt(0)                                       // 0000000099E0: BF8CC07F
	s_barrier                                                  // 0000000099E4: BF8A0000
	ds_read_b64 v[80:81], v24 offset:33792                     // 0000000099E8: D8EC8400 50000018
	ds_read_b64 v[82:83], v24 offset:33920                     // 0000000099F0: D8EC8480 52000018
	ds_read_b64 v[84:85], v24 offset:33824                     // 0000000099F8: D8EC8420 54000018
	ds_read_b64 v[86:87], v24 offset:33952                     // 000000009A00: D8EC84A0 56000018
	ds_read_b64 v[88:89], v24 offset:33856                     // 000000009A08: D8EC8440 58000018
	ds_read_b64 v[90:91], v24 offset:33984                     // 000000009A10: D8EC84C0 5A000018
	ds_read_b64 v[92:93], v24 offset:33888                     // 000000009A18: D8EC8460 5C000018
	ds_read_b64 v[94:95], v24 offset:34016                     // 000000009A20: D8EC84E0 5E000018
	s_waitcnt lgkmcnt(0)                                       // 000000009A28: BF8CC07F
	s_mov_b64 exec, s[94:95]                                   // 000000009A2C: BEFE015E
	buffer_store_dwordx4 v[80:83], v5, s[36:39], 0 idxen       // 000000009A30: E07C2000 80095005
	s_mov_b64 exec, s[90:91]                                   // 000000009A38: BEFE015A
	v_add_u32_e32 v5, s46, v5                                  // 000000009A3C: 680A0A2E
	s_mov_b64 exec, s[94:95]                                   // 000000009A40: BEFE015E
	buffer_store_dwordx4 v[84:87], v5, s[36:39], 0 idxen       // 000000009A44: E07C2000 80095405
	s_mov_b64 exec, s[90:91]                                   // 000000009A4C: BEFE015A
	v_add_u32_e32 v5, s46, v5                                  // 000000009A50: 680A0A2E
	s_mov_b64 exec, s[94:95]                                   // 000000009A54: BEFE015E
	buffer_store_dwordx4 v[88:91], v5, s[36:39], 0 idxen       // 000000009A58: E07C2000 80095805
	s_mov_b64 exec, s[90:91]                                   // 000000009A60: BEFE015A
	v_add_u32_e32 v5, s46, v5                                  // 000000009A64: 680A0A2E
	s_mov_b64 exec, s[94:95]                                   // 000000009A68: BEFE015E
	buffer_store_dwordx4 v[92:95], v5, s[36:39], 0 idxen       // 000000009A6C: E07C2000 80095C05
	s_mov_b64 exec, s[90:91]                                   // 000000009A74: BEFE015A
	v_add_u32_e32 v5, s46, v5                                  // 000000009A78: 680A0A2E
	s_mul_i32 s60, 12, s46                                     // 000000009A7C: 923C2E8C
	v_add_u32_e32 v5, s60, v5                                  // 000000009A80: 680A0A3C
	s_barrier                                                  // 000000009A84: BF8A0000
	s_cmp_ge_i32 3, s72                                        // 000000009A88: BF034883
	s_cbranch_scc1 label_1724                                  // 000000009A8C: BF850000

0000000000009a90 <label_1724>:
	v_mov_b32_e32 v28, v152                                    // 000000009A90: 7E380398
	v_mov_b32_e32 v29, v153                                    // 000000009A94: 7E3A0399
	v_cvt_pkrtz_f16_f32 v152, v28, v29                         // 000000009A98: D2960098 00023B1C
	v_mov_b32_e32 v28, v154                                    // 000000009AA0: 7E38039A
	v_mov_b32_e32 v29, v155                                    // 000000009AA4: 7E3A039B
	v_cvt_pkrtz_f16_f32 v153, v28, v29                         // 000000009AA8: D2960099 00023B1C
	v_mov_b32_e32 v28, v156                                    // 000000009AB0: 7E38039C
	v_mov_b32_e32 v29, v157                                    // 000000009AB4: 7E3A039D
	v_cvt_pkrtz_f16_f32 v154, v28, v29                         // 000000009AB8: D296009A 00023B1C
	v_mov_b32_e32 v28, v158                                    // 000000009AC0: 7E38039E
	v_mov_b32_e32 v29, v159                                    // 000000009AC4: 7E3A039F
	v_cvt_pkrtz_f16_f32 v155, v28, v29                         // 000000009AC8: D296009B 00023B1C
	v_mov_b32_e32 v28, v160                                    // 000000009AD0: 7E3803A0
	v_mov_b32_e32 v29, v161                                    // 000000009AD4: 7E3A03A1
	v_cvt_pkrtz_f16_f32 v156, v28, v29                         // 000000009AD8: D296009C 00023B1C
	v_mov_b32_e32 v28, v162                                    // 000000009AE0: 7E3803A2
	v_mov_b32_e32 v29, v163                                    // 000000009AE4: 7E3A03A3
	v_cvt_pkrtz_f16_f32 v157, v28, v29                         // 000000009AE8: D296009D 00023B1C
	v_mov_b32_e32 v28, v164                                    // 000000009AF0: 7E3803A4
	v_mov_b32_e32 v29, v165                                    // 000000009AF4: 7E3A03A5
	v_cvt_pkrtz_f16_f32 v158, v28, v29                         // 000000009AF8: D296009E 00023B1C
	v_mov_b32_e32 v28, v166                                    // 000000009B00: 7E3803A6
	v_mov_b32_e32 v29, v167                                    // 000000009B04: 7E3A03A7
	v_cvt_pkrtz_f16_f32 v159, v28, v29                         // 000000009B08: D296009F 00023B1C
	v_mov_b32_e32 v28, v168                                    // 000000009B10: 7E3803A8
	v_mov_b32_e32 v29, v169                                    // 000000009B14: 7E3A03A9
	v_cvt_pkrtz_f16_f32 v160, v28, v29                         // 000000009B18: D29600A0 00023B1C
	v_mov_b32_e32 v28, v170                                    // 000000009B20: 7E3803AA
	v_mov_b32_e32 v29, v171                                    // 000000009B24: 7E3A03AB
	v_cvt_pkrtz_f16_f32 v161, v28, v29                         // 000000009B28: D29600A1 00023B1C
	v_mov_b32_e32 v28, v172                                    // 000000009B30: 7E3803AC
	v_mov_b32_e32 v29, v173                                    // 000000009B34: 7E3A03AD
	v_cvt_pkrtz_f16_f32 v162, v28, v29                         // 000000009B38: D29600A2 00023B1C
	v_mov_b32_e32 v28, v174                                    // 000000009B40: 7E3803AE
	v_mov_b32_e32 v29, v175                                    // 000000009B44: 7E3A03AF
	v_cvt_pkrtz_f16_f32 v163, v28, v29                         // 000000009B48: D29600A3 00023B1C
	v_mov_b32_e32 v28, v176                                    // 000000009B50: 7E3803B0
	v_mov_b32_e32 v29, v177                                    // 000000009B54: 7E3A03B1
	v_cvt_pkrtz_f16_f32 v164, v28, v29                         // 000000009B58: D29600A4 00023B1C
	v_mov_b32_e32 v28, v178                                    // 000000009B60: 7E3803B2
	v_mov_b32_e32 v29, v179                                    // 000000009B64: 7E3A03B3
	v_cvt_pkrtz_f16_f32 v165, v28, v29                         // 000000009B68: D29600A5 00023B1C
	v_mov_b32_e32 v28, v180                                    // 000000009B70: 7E3803B4
	v_mov_b32_e32 v29, v181                                    // 000000009B74: 7E3A03B5
	v_cvt_pkrtz_f16_f32 v166, v28, v29                         // 000000009B78: D29600A6 00023B1C
	v_mov_b32_e32 v28, v182                                    // 000000009B80: 7E3803B6
	v_mov_b32_e32 v29, v183                                    // 000000009B84: 7E3A03B7
	v_cvt_pkrtz_f16_f32 v167, v28, v29                         // 000000009B88: D29600A7 00023B1C
	ds_write_b64 v25, v[152:153]                               // 000000009B90: D89A0000 00009819
	ds_write_b64 v25, v[154:155] offset:528                    // 000000009B98: D89A0210 00009A19
	ds_write_b64 v25, v[156:157] offset:1056                   // 000000009BA0: D89A0420 00009C19
	ds_write_b64 v25, v[158:159] offset:1584                   // 000000009BA8: D89A0630 00009E19
	ds_write_b64 v25, v[160:161] offset:2112                   // 000000009BB0: D89A0840 0000A019
	ds_write_b64 v25, v[162:163] offset:2640                   // 000000009BB8: D89A0A50 0000A219
	ds_write_b64 v25, v[164:165] offset:3168                   // 000000009BC0: D89A0C60 0000A419
	ds_write_b64 v25, v[166:167] offset:3696                   // 000000009BC8: D89A0E70 0000A619
	s_waitcnt lgkmcnt(0)                                       // 000000009BD0: BF8CC07F
	s_barrier                                                  // 000000009BD4: BF8A0000
	ds_read_b64 v[152:153], v24                                // 000000009BD8: D8EC0000 98000018
	ds_read_b64 v[154:155], v24 offset:128                     // 000000009BE0: D8EC0080 9A000018
	ds_read_b64 v[156:157], v24 offset:32                      // 000000009BE8: D8EC0020 9C000018
	ds_read_b64 v[158:159], v24 offset:160                     // 000000009BF0: D8EC00A0 9E000018
	ds_read_b64 v[160:161], v24 offset:64                      // 000000009BF8: D8EC0040 A0000018
	ds_read_b64 v[162:163], v24 offset:192                     // 000000009C00: D8EC00C0 A2000018
	ds_read_b64 v[164:165], v24 offset:96                      // 000000009C08: D8EC0060 A4000018
	ds_read_b64 v[166:167], v24 offset:224                     // 000000009C10: D8EC00E0 A6000018
	s_waitcnt lgkmcnt(0)                                       // 000000009C18: BF8CC07F
	s_mov_b64 exec, s[94:95]                                   // 000000009C1C: BEFE015E
	buffer_store_dwordx4 v[152:155], v6, s[40:43], 0 idxen     // 000000009C20: E07C2000 800A9806
	s_mov_b64 exec, s[90:91]                                   // 000000009C28: BEFE015A
	v_add_u32_e32 v6, s46, v6                                  // 000000009C2C: 680C0C2E
	s_mov_b64 exec, s[94:95]                                   // 000000009C30: BEFE015E
	buffer_store_dwordx4 v[156:159], v6, s[40:43], 0 idxen     // 000000009C34: E07C2000 800A9C06
	s_mov_b64 exec, s[90:91]                                   // 000000009C3C: BEFE015A
	v_add_u32_e32 v6, s46, v6                                  // 000000009C40: 680C0C2E
	s_mov_b64 exec, s[94:95]                                   // 000000009C44: BEFE015E
	buffer_store_dwordx4 v[160:163], v6, s[40:43], 0 idxen     // 000000009C48: E07C2000 800AA006
	s_mov_b64 exec, s[90:91]                                   // 000000009C50: BEFE015A
	v_add_u32_e32 v6, s46, v6                                  // 000000009C54: 680C0C2E
	s_mov_b64 exec, s[94:95]                                   // 000000009C58: BEFE015E
	buffer_store_dwordx4 v[164:167], v6, s[40:43], 0 idxen     // 000000009C5C: E07C2000 800AA406
	s_mov_b64 exec, s[90:91]                                   // 000000009C64: BEFE015A
	v_add_u32_e32 v6, s46, v6                                  // 000000009C68: 680C0C2E
	s_mul_i32 s60, 12, s46                                     // 000000009C6C: 923C2E8C
	v_add_u32_e32 v6, s60, v6                                  // 000000009C70: 680C0C3C
	s_cmp_ge_i32 1, s72                                        // 000000009C74: BF034881
	s_cbranch_scc1 label_1895                                  // 000000009C78: BF8500F6
	v_mov_b32_e32 v28, v184                                    // 000000009C7C: 7E3803B8
	v_mov_b32_e32 v29, v185                                    // 000000009C80: 7E3A03B9
	v_cvt_pkrtz_f16_f32 v168, v28, v29                         // 000000009C84: D29600A8 00023B1C
	v_mov_b32_e32 v28, v186                                    // 000000009C8C: 7E3803BA
	v_mov_b32_e32 v29, v187                                    // 000000009C90: 7E3A03BB
	v_cvt_pkrtz_f16_f32 v169, v28, v29                         // 000000009C94: D29600A9 00023B1C
	v_mov_b32_e32 v28, v188                                    // 000000009C9C: 7E3803BC
	v_mov_b32_e32 v29, v189                                    // 000000009CA0: 7E3A03BD
	v_cvt_pkrtz_f16_f32 v170, v28, v29                         // 000000009CA4: D29600AA 00023B1C
	v_mov_b32_e32 v28, v190                                    // 000000009CAC: 7E3803BE
	v_mov_b32_e32 v29, v191                                    // 000000009CB0: 7E3A03BF
	v_cvt_pkrtz_f16_f32 v171, v28, v29                         // 000000009CB4: D29600AB 00023B1C
	v_mov_b32_e32 v28, v192                                    // 000000009CBC: 7E3803C0
	v_mov_b32_e32 v29, v193                                    // 000000009CC0: 7E3A03C1
	v_cvt_pkrtz_f16_f32 v172, v28, v29                         // 000000009CC4: D29600AC 00023B1C
	v_mov_b32_e32 v28, v194                                    // 000000009CCC: 7E3803C2
	v_mov_b32_e32 v29, v195                                    // 000000009CD0: 7E3A03C3
	v_cvt_pkrtz_f16_f32 v173, v28, v29                         // 000000009CD4: D29600AD 00023B1C
	v_mov_b32_e32 v28, v196                                    // 000000009CDC: 7E3803C4
	v_mov_b32_e32 v29, v197                                    // 000000009CE0: 7E3A03C5
	v_cvt_pkrtz_f16_f32 v174, v28, v29                         // 000000009CE4: D29600AE 00023B1C
	v_mov_b32_e32 v28, v198                                    // 000000009CEC: 7E3803C6
	v_mov_b32_e32 v29, v199                                    // 000000009CF0: 7E3A03C7
	v_cvt_pkrtz_f16_f32 v175, v28, v29                         // 000000009CF4: D29600AF 00023B1C
	v_mov_b32_e32 v28, v200                                    // 000000009CFC: 7E3803C8
	v_mov_b32_e32 v29, v201                                    // 000000009D00: 7E3A03C9
	v_cvt_pkrtz_f16_f32 v176, v28, v29                         // 000000009D04: D29600B0 00023B1C
	v_mov_b32_e32 v28, v202                                    // 000000009D0C: 7E3803CA
	v_mov_b32_e32 v29, v203                                    // 000000009D10: 7E3A03CB
	v_cvt_pkrtz_f16_f32 v177, v28, v29                         // 000000009D14: D29600B1 00023B1C
	v_mov_b32_e32 v28, v204                                    // 000000009D1C: 7E3803CC
	v_mov_b32_e32 v29, v205                                    // 000000009D20: 7E3A03CD
	v_cvt_pkrtz_f16_f32 v178, v28, v29                         // 000000009D24: D29600B2 00023B1C
	v_mov_b32_e32 v28, v206                                    // 000000009D2C: 7E3803CE
	v_mov_b32_e32 v29, v207                                    // 000000009D30: 7E3A03CF
	v_cvt_pkrtz_f16_f32 v179, v28, v29                         // 000000009D34: D29600B3 00023B1C
	v_mov_b32_e32 v28, v208                                    // 000000009D3C: 7E3803D0
	v_mov_b32_e32 v29, v209                                    // 000000009D40: 7E3A03D1
	v_cvt_pkrtz_f16_f32 v180, v28, v29                         // 000000009D44: D29600B4 00023B1C
	v_mov_b32_e32 v28, v210                                    // 000000009D4C: 7E3803D2
	v_mov_b32_e32 v29, v211                                    // 000000009D50: 7E3A03D3
	v_cvt_pkrtz_f16_f32 v181, v28, v29                         // 000000009D54: D29600B5 00023B1C
	v_mov_b32_e32 v28, v212                                    // 000000009D5C: 7E3803D4
	v_mov_b32_e32 v29, v213                                    // 000000009D60: 7E3A03D5
	v_cvt_pkrtz_f16_f32 v182, v28, v29                         // 000000009D64: D29600B6 00023B1C
	v_mov_b32_e32 v28, v214                                    // 000000009D6C: 7E3803D6
	v_mov_b32_e32 v29, v215                                    // 000000009D70: 7E3A03D7
	v_cvt_pkrtz_f16_f32 v183, v28, v29                         // 000000009D74: D29600B7 00023B1C
	ds_write_b64 v25, v[168:169] offset:16896                  // 000000009D7C: D89A4200 0000A819
	ds_write_b64 v25, v[170:171] offset:17424                  // 000000009D84: D89A4410 0000AA19
	ds_write_b64 v25, v[172:173] offset:17952                  // 000000009D8C: D89A4620 0000AC19
	ds_write_b64 v25, v[174:175] offset:18480                  // 000000009D94: D89A4830 0000AE19
	ds_write_b64 v25, v[176:177] offset:19008                  // 000000009D9C: D89A4A40 0000B019
	ds_write_b64 v25, v[178:179] offset:19536                  // 000000009DA4: D89A4C50 0000B219
	ds_write_b64 v25, v[180:181] offset:20064                  // 000000009DAC: D89A4E60 0000B419
	ds_write_b64 v25, v[182:183] offset:20592                  // 000000009DB4: D89A5070 0000B619
	s_waitcnt lgkmcnt(0)                                       // 000000009DBC: BF8CC07F
	s_barrier                                                  // 000000009DC0: BF8A0000
	ds_read_b64 v[168:169], v24 offset:16896                   // 000000009DC4: D8EC4200 A8000018
	ds_read_b64 v[170:171], v24 offset:17024                   // 000000009DCC: D8EC4280 AA000018
	ds_read_b64 v[172:173], v24 offset:16928                   // 000000009DD4: D8EC4220 AC000018
	ds_read_b64 v[174:175], v24 offset:17056                   // 000000009DDC: D8EC42A0 AE000018
	ds_read_b64 v[176:177], v24 offset:16960                   // 000000009DE4: D8EC4240 B0000018
	ds_read_b64 v[178:179], v24 offset:17088                   // 000000009DEC: D8EC42C0 B2000018
	ds_read_b64 v[180:181], v24 offset:16992                   // 000000009DF4: D8EC4260 B4000018
	ds_read_b64 v[182:183], v24 offset:17120                   // 000000009DFC: D8EC42E0 B6000018
	s_waitcnt lgkmcnt(0)                                       // 000000009E04: BF8CC07F
	s_mov_b64 exec, s[94:95]                                   // 000000009E08: BEFE015E
	buffer_store_dwordx4 v[168:171], v6, s[40:43], 0 idxen     // 000000009E0C: E07C2000 800AA806
	s_mov_b64 exec, s[90:91]                                   // 000000009E14: BEFE015A
	v_add_u32_e32 v6, s46, v6                                  // 000000009E18: 680C0C2E
	s_mov_b64 exec, s[94:95]                                   // 000000009E1C: BEFE015E
	buffer_store_dwordx4 v[172:175], v6, s[40:43], 0 idxen     // 000000009E20: E07C2000 800AAC06
	s_mov_b64 exec, s[90:91]                                   // 000000009E28: BEFE015A
	v_add_u32_e32 v6, s46, v6                                  // 000000009E2C: 680C0C2E
	s_mov_b64 exec, s[94:95]                                   // 000000009E30: BEFE015E
	buffer_store_dwordx4 v[176:179], v6, s[40:43], 0 idxen     // 000000009E34: E07C2000 800AB006
	s_mov_b64 exec, s[90:91]                                   // 000000009E3C: BEFE015A
	v_add_u32_e32 v6, s46, v6                                  // 000000009E40: 680C0C2E
	s_mov_b64 exec, s[94:95]                                   // 000000009E44: BEFE015E
	buffer_store_dwordx4 v[180:183], v6, s[40:43], 0 idxen     // 000000009E48: E07C2000 800AB406
	s_mov_b64 exec, s[90:91]                                   // 000000009E50: BEFE015A
	v_add_u32_e32 v6, s46, v6                                  // 000000009E54: 680C0C2E
	s_mul_i32 s60, 12, s46                                     // 000000009E58: 923C2E8C
	v_add_u32_e32 v6, s60, v6                                  // 000000009E5C: 680C0C3C
	s_cmp_ge_i32 2, s72                                        // 000000009E60: BF034882
	s_cbranch_scc1 label_1895                                  // 000000009E64: BF85007B
	v_mov_b32_e32 v28, v216                                    // 000000009E68: 7E3803D8
	v_mov_b32_e32 v29, v217                                    // 000000009E6C: 7E3A03D9
	v_cvt_pkrtz_f16_f32 v184, v28, v29                         // 000000009E70: D29600B8 00023B1C
	v_mov_b32_e32 v28, v218                                    // 000000009E78: 7E3803DA
	v_mov_b32_e32 v29, v219                                    // 000000009E7C: 7E3A03DB
	v_cvt_pkrtz_f16_f32 v185, v28, v29                         // 000000009E80: D29600B9 00023B1C
	v_mov_b32_e32 v28, v220                                    // 000000009E88: 7E3803DC
	v_mov_b32_e32 v29, v221                                    // 000000009E8C: 7E3A03DD
	v_cvt_pkrtz_f16_f32 v186, v28, v29                         // 000000009E90: D29600BA 00023B1C
	v_mov_b32_e32 v28, v222                                    // 000000009E98: 7E3803DE
	v_mov_b32_e32 v29, v223                                    // 000000009E9C: 7E3A03DF
	v_cvt_pkrtz_f16_f32 v187, v28, v29                         // 000000009EA0: D29600BB 00023B1C
	v_mov_b32_e32 v28, v224                                    // 000000009EA8: 7E3803E0
	v_mov_b32_e32 v29, v225                                    // 000000009EAC: 7E3A03E1
	v_cvt_pkrtz_f16_f32 v188, v28, v29                         // 000000009EB0: D29600BC 00023B1C
	v_mov_b32_e32 v28, v226                                    // 000000009EB8: 7E3803E2
	v_mov_b32_e32 v29, v227                                    // 000000009EBC: 7E3A03E3
	v_cvt_pkrtz_f16_f32 v189, v28, v29                         // 000000009EC0: D29600BD 00023B1C
	v_mov_b32_e32 v28, v228                                    // 000000009EC8: 7E3803E4
	v_mov_b32_e32 v29, v229                                    // 000000009ECC: 7E3A03E5
	v_cvt_pkrtz_f16_f32 v190, v28, v29                         // 000000009ED0: D29600BE 00023B1C
	v_mov_b32_e32 v28, v230                                    // 000000009ED8: 7E3803E6
	v_mov_b32_e32 v29, v231                                    // 000000009EDC: 7E3A03E7
	v_cvt_pkrtz_f16_f32 v191, v28, v29                         // 000000009EE0: D29600BF 00023B1C
	v_mov_b32_e32 v28, v232                                    // 000000009EE8: 7E3803E8
	v_mov_b32_e32 v29, v233                                    // 000000009EEC: 7E3A03E9
	v_cvt_pkrtz_f16_f32 v192, v28, v29                         // 000000009EF0: D29600C0 00023B1C
	v_mov_b32_e32 v28, v234                                    // 000000009EF8: 7E3803EA
	v_mov_b32_e32 v29, v235                                    // 000000009EFC: 7E3A03EB
	v_cvt_pkrtz_f16_f32 v193, v28, v29                         // 000000009F00: D29600C1 00023B1C
	v_mov_b32_e32 v28, v236                                    // 000000009F08: 7E3803EC
	v_mov_b32_e32 v29, v237                                    // 000000009F0C: 7E3A03ED
	v_cvt_pkrtz_f16_f32 v194, v28, v29                         // 000000009F10: D29600C2 00023B1C
	v_mov_b32_e32 v28, v238                                    // 000000009F18: 7E3803EE
	v_mov_b32_e32 v29, v239                                    // 000000009F1C: 7E3A03EF
	v_cvt_pkrtz_f16_f32 v195, v28, v29                         // 000000009F20: D29600C3 00023B1C
	v_mov_b32_e32 v28, v240                                    // 000000009F28: 7E3803F0
	v_mov_b32_e32 v29, v241                                    // 000000009F2C: 7E3A03F1
	v_cvt_pkrtz_f16_f32 v196, v28, v29                         // 000000009F30: D29600C4 00023B1C
	v_mov_b32_e32 v28, v242                                    // 000000009F38: 7E3803F2
	v_mov_b32_e32 v29, v243                                    // 000000009F3C: 7E3A03F3
	v_cvt_pkrtz_f16_f32 v197, v28, v29                         // 000000009F40: D29600C5 00023B1C
	v_mov_b32_e32 v28, v244                                    // 000000009F48: 7E3803F4
	v_mov_b32_e32 v29, v245                                    // 000000009F4C: 7E3A03F5
	v_cvt_pkrtz_f16_f32 v198, v28, v29                         // 000000009F50: D29600C6 00023B1C
	v_mov_b32_e32 v28, v246                                    // 000000009F58: 7E3803F6
	v_mov_b32_e32 v29, v247                                    // 000000009F5C: 7E3A03F7
	v_cvt_pkrtz_f16_f32 v199, v28, v29                         // 000000009F60: D29600C7 00023B1C
	ds_write_b64 v25, v[184:185] offset:33792                  // 000000009F68: D89A8400 0000B819
	ds_write_b64 v25, v[186:187] offset:34320                  // 000000009F70: D89A8610 0000BA19
	ds_write_b64 v25, v[188:189] offset:34848                  // 000000009F78: D89A8820 0000BC19
	ds_write_b64 v25, v[190:191] offset:35376                  // 000000009F80: D89A8A30 0000BE19
	ds_write_b64 v25, v[192:193] offset:35904                  // 000000009F88: D89A8C40 0000C019
	ds_write_b64 v25, v[194:195] offset:36432                  // 000000009F90: D89A8E50 0000C219
	ds_write_b64 v25, v[196:197] offset:36960                  // 000000009F98: D89A9060 0000C419
	ds_write_b64 v25, v[198:199] offset:37488                  // 000000009FA0: D89A9270 0000C619
	s_waitcnt lgkmcnt(0)                                       // 000000009FA8: BF8CC07F
	s_barrier                                                  // 000000009FAC: BF8A0000
	ds_read_b64 v[184:185], v24 offset:33792                   // 000000009FB0: D8EC8400 B8000018
	ds_read_b64 v[186:187], v24 offset:33920                   // 000000009FB8: D8EC8480 BA000018
	ds_read_b64 v[188:189], v24 offset:33824                   // 000000009FC0: D8EC8420 BC000018
	ds_read_b64 v[190:191], v24 offset:33952                   // 000000009FC8: D8EC84A0 BE000018
	ds_read_b64 v[192:193], v24 offset:33856                   // 000000009FD0: D8EC8440 C0000018
	ds_read_b64 v[194:195], v24 offset:33984                   // 000000009FD8: D8EC84C0 C2000018
	ds_read_b64 v[196:197], v24 offset:33888                   // 000000009FE0: D8EC8460 C4000018
	ds_read_b64 v[198:199], v24 offset:34016                   // 000000009FE8: D8EC84E0 C6000018
	s_waitcnt lgkmcnt(0)                                       // 000000009FF0: BF8CC07F
	s_mov_b64 exec, s[94:95]                                   // 000000009FF4: BEFE015E
	buffer_store_dwordx4 v[184:187], v6, s[40:43], 0 idxen     // 000000009FF8: E07C2000 800AB806
	s_mov_b64 exec, s[90:91]                                   // 00000000A000: BEFE015A
	v_add_u32_e32 v6, s46, v6                                  // 00000000A004: 680C0C2E
	s_mov_b64 exec, s[94:95]                                   // 00000000A008: BEFE015E
	buffer_store_dwordx4 v[188:191], v6, s[40:43], 0 idxen     // 00000000A00C: E07C2000 800ABC06
	s_mov_b64 exec, s[90:91]                                   // 00000000A014: BEFE015A
	v_add_u32_e32 v6, s46, v6                                  // 00000000A018: 680C0C2E
	s_mov_b64 exec, s[94:95]                                   // 00000000A01C: BEFE015E
	buffer_store_dwordx4 v[192:195], v6, s[40:43], 0 idxen     // 00000000A020: E07C2000 800AC006
	s_mov_b64 exec, s[90:91]                                   // 00000000A028: BEFE015A
	v_add_u32_e32 v6, s46, v6                                  // 00000000A02C: 680C0C2E
	s_mov_b64 exec, s[94:95]                                   // 00000000A030: BEFE015E
	buffer_store_dwordx4 v[196:199], v6, s[40:43], 0 idxen     // 00000000A034: E07C2000 800AC406
	s_mov_b64 exec, s[90:91]                                   // 00000000A03C: BEFE015A
	v_add_u32_e32 v6, s46, v6                                  // 00000000A040: 680C0C2E
	s_mul_i32 s60, 12, s46                                     // 00000000A044: 923C2E8C
	v_add_u32_e32 v6, s60, v6                                  // 00000000A048: 680C0C3C
	s_cmp_ge_i32 3, s72                                        // 00000000A04C: BF034883
	s_cbranch_scc1 label_1895                                  // 00000000A050: BF850000

000000000000a054 <label_1895>:
	s_waitcnt vmcnt(0) expcnt(0) lgkmcnt(0)                    // 00000000A054: BF8C0000
	s_mov_b32 s32, s88                                         // 00000000A058: BEA00058
	s_mov_b32 s33, s89                                         // 00000000A05C: BEA10059
	s_sub_i32 s60, s77, 1                                      // 00000000A060: 81BC814D
	s_sub_i32 s2, s60, s2                                      // 00000000A064: 8182023C
	s_addk_i32 s75, 0x1                                        // 00000000A068: B74B0001
	s_cmp_lt_i32 s75, s76                                      // 00000000A06C: BF044C4B
	s_cbranch_scc1 label_0116                                  // 00000000A070: BF85E879
	s_endpgm                                                   // 00000000A074: BF810000
